;; amdgpu-corpus repo=ROCm/rocFFT kind=compiled arch=gfx1100 opt=O3
	.text
	.amdgcn_target "amdgcn-amd-amdhsa--gfx1100"
	.amdhsa_code_object_version 6
	.protected	bluestein_single_fwd_len3600_dim1_dp_op_CI_CI ; -- Begin function bluestein_single_fwd_len3600_dim1_dp_op_CI_CI
	.globl	bluestein_single_fwd_len3600_dim1_dp_op_CI_CI
	.p2align	8
	.type	bluestein_single_fwd_len3600_dim1_dp_op_CI_CI,@function
bluestein_single_fwd_len3600_dim1_dp_op_CI_CI: ; @bluestein_single_fwd_len3600_dim1_dp_op_CI_CI
; %bb.0:
	s_load_b128 s[16:19], s[0:1], 0x28
	v_mul_u32_u24_e32 v1, 0x223, v0
	s_mov_b32 s2, exec_lo
	v_mov_b32_e32 v3, 0
	s_delay_alu instid0(VALU_DEP_2) | instskip(NEXT) | instid1(VALU_DEP_1)
	v_lshrrev_b32_e32 v1, 16, v1
	v_add_nc_u32_e32 v2, s15, v1
	s_waitcnt lgkmcnt(0)
	s_delay_alu instid0(VALU_DEP_1)
	v_cmpx_gt_u64_e64 s[16:17], v[2:3]
	s_cbranch_execz .LBB0_2
; %bb.1:
	s_clause 0x1
	s_load_b128 s[4:7], s[0:1], 0x18
	s_load_b128 s[8:11], s[0:1], 0x0
	v_mul_lo_u16 v1, 0x78, v1
	s_mov_b32 s17, 0xbfee6f0e
	s_mov_b32 s22, 0x9b97f4a8
	;; [unrolled: 1-line block ×4, first 2 shown]
	v_sub_nc_u16 v239, v0, v1
	s_mov_b32 s20, s22
	s_mov_b32 s29, 0xbfebb67a
	v_mov_b32_e32 v6, v2
	s_load_b64 s[0:1], s[0:1], 0x38
	v_and_b32_e32 v213, 0xffff, v239
	s_delay_alu instid0(VALU_DEP_1)
	v_or_b32_e32 v8, 0x780, v213
	scratch_store_b64 off, v[6:7], off offset:1308 ; 8-byte Folded Spill
	v_lshlrev_b32_e32 v32, 4, v213
	s_waitcnt lgkmcnt(0)
	s_load_b128 s[12:15], s[4:5], 0x0
	s_add_u32 s24, s8, 0xe100
	scratch_store_b32 off, v8, off          ; 4-byte Folded Spill
	s_addc_u32 s25, s9, 0
	v_add_co_u32 v14, s2, s8, v32
	s_delay_alu instid0(VALU_DEP_1)
	v_add_co_ci_u32_e64 v15, null, s9, 0, s2
	s_waitcnt lgkmcnt(0)
	v_mad_u64_u32 v[0:1], null, s14, v2, 0
	v_mad_u64_u32 v[2:3], null, s12, v213, 0
	s_mul_i32 s2, s13, 0x1680
	s_mul_hi_u32 s3, s12, 0x1680
	s_mul_i32 s4, s12, 0x1680
	s_add_i32 s3, s3, s2
	v_add_co_u32 v10, s2, 0x4000, v14
	s_delay_alu instid0(VALU_DEP_2) | instskip(SKIP_3) | instid1(VALU_DEP_1)
	v_mad_u64_u32 v[4:5], null, s15, v6, v[1:2]
	s_mov_b32 s14, 0x134454ff
	s_mov_b32 s15, 0x3fee6f0e
	;; [unrolled: 1-line block ×3, first 2 shown]
	v_mad_u64_u32 v[5:6], null, s13, v213, v[3:4]
	v_mov_b32_e32 v1, v4
	s_delay_alu instid0(VALU_DEP_1) | instskip(NEXT) | instid1(VALU_DEP_3)
	v_lshlrev_b64 v[0:1], 4, v[0:1]
	v_mov_b32_e32 v3, v5
	s_delay_alu instid0(VALU_DEP_2) | instskip(NEXT) | instid1(VALU_DEP_2)
	v_add_co_u32 v6, vcc_lo, s18, v0
	v_lshlrev_b64 v[2:3], 4, v[2:3]
	s_delay_alu instid0(VALU_DEP_4) | instskip(SKIP_2) | instid1(VALU_DEP_3)
	v_add_co_ci_u32_e32 v7, vcc_lo, s19, v1, vcc_lo
	v_mad_u64_u32 v[0:1], null, s12, v8, 0
	s_mov_b32 s19, 0xbfd3c6ef
	v_add_co_u32 v2, vcc_lo, v6, v2
	s_delay_alu instid0(VALU_DEP_3)
	v_add_co_ci_u32_e32 v3, vcc_lo, v7, v3, vcc_lo
	global_load_b128 v[99:102], v32, s[8:9]
	global_load_b128 v[16:19], v[2:3], off
	v_mad_u64_u32 v[4:5], null, s13, v8, v[1:2]
	v_add_co_u32 v12, vcc_lo, 0x1000, v14
	v_add_co_ci_u32_e32 v13, vcc_lo, 0, v15, vcc_lo
	v_lshlrev_b32_e32 v5, 4, v8
	s_delay_alu instid0(VALU_DEP_4) | instskip(SKIP_2) | instid1(VALU_DEP_1)
	v_mov_b32_e32 v1, v4
	scratch_store_b32 off, v5, off offset:484 ; 4-byte Folded Spill
	v_lshlrev_b64 v[0:1], 4, v[0:1]
	v_add_co_u32 v0, vcc_lo, v6, v0
	s_delay_alu instid0(VALU_DEP_2)
	v_add_co_ci_u32_e32 v1, vcc_lo, v7, v1, vcc_lo
	v_add_co_u32 v2, vcc_lo, v2, s4
	v_add_co_ci_u32_e32 v3, vcc_lo, s3, v3, vcc_lo
	global_load_b128 v[63:66], v5, s[8:9]
	global_load_b128 v[20:23], v[0:1], off
	global_load_b128 v[87:90], v[12:13], off offset:1664
	global_load_b128 v[24:27], v[2:3], off
	v_add_co_u32 v6, vcc_lo, 0x2000, v14
	v_add_co_ci_u32_e32 v7, vcc_lo, 0, v15, vcc_lo
	v_add_co_ci_u32_e64 v11, vcc_lo, 0, v15, s2
	v_add_co_u32 v0, vcc_lo, v2, s4
	v_add_co_ci_u32_e32 v1, vcc_lo, s3, v3, vcc_lo
	global_load_b128 v[95:98], v[6:7], off offset:3328
	v_add_co_u32 v2, vcc_lo, v0, s4
	v_add_co_ci_u32_e32 v3, vcc_lo, s3, v1, vcc_lo
	global_load_b128 v[28:31], v[0:1], off
	global_load_b128 v[79:82], v[10:11], off offset:896
	global_load_b128 v[33:36], v[2:3], off
	v_add_co_u32 v4, vcc_lo, 0x5000, v14
	v_add_co_u32 v0, s2, 0x7000, v14
	v_add_co_ci_u32_e32 v5, vcc_lo, 0, v15, vcc_lo
	v_add_co_ci_u32_e64 v1, vcc_lo, 0, v15, s2
	v_add_co_u32 v2, vcc_lo, v2, s4
	v_add_co_ci_u32_e32 v3, vcc_lo, s3, v3, vcc_lo
	global_load_b128 v[83:86], v[4:5], off offset:2560
	v_add_co_u32 v45, vcc_lo, v2, s4
	v_add_co_ci_u32_e32 v46, vcc_lo, s3, v3, vcc_lo
	global_load_b128 v[37:40], v[2:3], off
	global_load_b128 v[75:78], v[0:1], off offset:128
	global_load_b128 v[41:44], v[45:46], off
	v_add_co_u32 v8, vcc_lo, 0x8000, v14
	v_add_co_u32 v2, s2, 0x9000, v14
	v_add_co_ci_u32_e32 v9, vcc_lo, 0, v15, vcc_lo
	v_add_co_ci_u32_e64 v3, vcc_lo, 0, v15, s2
	v_add_co_u32 v45, vcc_lo, v45, s4
	v_add_co_ci_u32_e32 v46, vcc_lo, s3, v46, vcc_lo
	global_load_b128 v[67:70], v[8:9], off offset:1792
	v_add_co_u32 v53, vcc_lo, v45, s4
	v_add_co_ci_u32_e32 v54, vcc_lo, s3, v46, vcc_lo
	global_load_b128 v[45:48], v[45:46], off
	global_load_b128 v[71:74], v[2:3], off offset:3456
	global_load_b128 v[49:52], v[53:54], off
	s_mul_i32 s2, s13, 0xffff3d00
	s_delay_alu instid0(SALU_CYCLE_1)
	s_sub_i32 s2, s2, s12
	s_waitcnt vmcnt(17)
	scratch_store_b128 off, v[99:102], off offset:468 ; 16-byte Folded Spill
	s_waitcnt vmcnt(16)
	v_mul_f64 v[55:56], v[18:19], v[101:102]
	v_mul_f64 v[57:58], v[16:17], v[101:102]
	s_waitcnt vmcnt(15)
	v_mov_b32_e32 v94, v66
	s_waitcnt vmcnt(14)
	v_mul_f64 v[59:60], v[22:23], v[65:66]
	v_mul_f64 v[61:62], v[20:21], v[65:66]
	v_dual_mov_b32 v93, v65 :: v_dual_mov_b32 v92, v64
	v_mov_b32_e32 v91, v63
	s_waitcnt vmcnt(12)
	v_mul_f64 v[63:64], v[26:27], v[89:90]
	v_fma_f64 v[16:17], v[16:17], v[99:100], v[55:56]
	v_mul_f64 v[55:56], v[24:25], v[89:90]
	v_fma_f64 v[18:19], v[18:19], v[99:100], -v[57:58]
	s_waitcnt vmcnt(11)
	scratch_store_b128 off, v[95:98], off offset:388 ; 16-byte Folded Spill
	s_waitcnt vmcnt(10)
	v_mul_f64 v[57:58], v[30:31], v[97:98]
	s_waitcnt vmcnt(9)
	scratch_store_b128 off, v[79:82], off offset:420 ; 16-byte Folded Spill
	s_waitcnt vmcnt(7)
	scratch_store_b128 off, v[83:86], off offset:436 ; 16-byte Folded Spill
	;; [unrolled: 2-line block ×3, first 2 shown]
	v_fma_f64 v[20:21], v[20:21], v[91:92], v[59:60]
	v_mul_f64 v[59:60], v[28:29], v[97:98]
	v_fma_f64 v[22:23], v[22:23], v[91:92], -v[61:62]
	v_mul_f64 v[61:62], v[35:36], v[81:82]
	v_fma_f64 v[24:25], v[24:25], v[87:88], v[63:64]
	v_mul_f64 v[63:64], v[39:40], v[85:86]
	s_waitcnt vmcnt(3)
	scratch_store_b128 off, v[67:70], off offset:372 ; 16-byte Folded Spill
	v_fma_f64 v[26:27], v[26:27], v[87:88], -v[55:56]
	v_mul_f64 v[55:56], v[33:34], v[81:82]
	v_fma_f64 v[28:29], v[28:29], v[95:96], v[57:58]
	s_waitcnt vmcnt(1)
	scratch_store_b128 off, v[71:74], off offset:324 ; 16-byte Folded Spill
	v_mul_f64 v[57:58], v[37:38], v[85:86]
	v_add_co_u32 v85, vcc_lo, 0xb000, v14
	v_add_co_ci_u32_e32 v86, vcc_lo, 0, v15, vcc_lo
	v_fma_f64 v[30:31], v[30:31], v[95:96], -v[59:60]
	v_mul_f64 v[59:60], v[43:44], v[77:78]
	v_fma_f64 v[33:34], v[33:34], v[79:80], v[61:62]
	v_mul_f64 v[61:62], v[47:48], v[69:70]
	v_fma_f64 v[37:38], v[37:38], v[83:84], v[63:64]
	s_waitcnt vmcnt(0)
	v_mul_f64 v[63:64], v[51:52], v[73:74]
	v_fma_f64 v[35:36], v[35:36], v[79:80], -v[55:56]
	v_mul_f64 v[55:56], v[41:42], v[77:78]
	v_fma_f64 v[39:40], v[39:40], v[83:84], -v[57:58]
	v_mul_f64 v[57:58], v[45:46], v[69:70]
	v_fma_f64 v[41:42], v[41:42], v[75:76], v[59:60]
	v_add_co_u32 v59, vcc_lo, v53, s4
	v_add_co_ci_u32_e32 v60, vcc_lo, s3, v54, vcc_lo
	v_fma_f64 v[45:46], v[45:46], v[67:68], v[61:62]
	v_fma_f64 v[43:44], v[43:44], v[75:76], -v[55:56]
	v_mul_f64 v[55:56], v[49:50], v[73:74]
	v_fma_f64 v[49:50], v[49:50], v[71:72], v[63:64]
	v_fma_f64 v[47:48], v[47:48], v[67:68], -v[57:58]
	global_load_b128 v[65:68], v[85:86], off offset:1024
	scratch_store_b128 off, v[91:94], off offset:4 ; 16-byte Folded Spill
	v_fma_f64 v[51:52], v[51:52], v[71:72], -v[55:56]
	global_load_b128 v[53:56], v[59:60], off
	global_load_b128 v[71:74], v32, s[8:9] offset:1920
	s_waitcnt vmcnt(2)
	scratch_store_b128 off, v[65:68], off offset:196 ; 16-byte Folded Spill
	s_waitcnt vmcnt(1)
	v_mul_f64 v[61:62], v[53:54], v[67:68]
	v_mul_f64 v[57:58], v[55:56], v[67:68]
	s_waitcnt vmcnt(0)
	scratch_store_b128 off, v[71:74], off offset:212 ; 16-byte Folded Spill
	v_fma_f64 v[55:56], v[55:56], v[65:66], -v[61:62]
	v_add_co_u32 v61, vcc_lo, v59, s4
	v_add_co_ci_u32_e32 v62, vcc_lo, s3, v60, vcc_lo
	v_add_co_u32 v117, vcc_lo, 0xc000, v14
	v_add_co_ci_u32_e32 v118, vcc_lo, 0, v15, vcc_lo
	v_fma_f64 v[53:54], v[53:54], v[65:66], v[57:58]
	global_load_b128 v[57:60], v[61:62], off
	global_load_b128 v[67:70], v[117:118], off offset:2688
	s_waitcnt vmcnt(0)
	v_mul_f64 v[65:66], v[57:58], v[69:70]
	v_mul_f64 v[63:64], v[59:60], v[69:70]
	scratch_store_b128 off, v[67:70], off offset:276 ; 16-byte Folded Spill
	v_fma_f64 v[59:60], v[59:60], v[67:68], -v[65:66]
	v_mad_u64_u32 v[65:66], null, 0xffff3d00, s12, v[61:62]
	v_fma_f64 v[57:58], v[57:58], v[67:68], v[63:64]
	s_delay_alu instid0(VALU_DEP_2)
	v_add_nc_u32_e32 v66, s2, v66
	global_load_b128 v[61:64], v[65:66], off
	s_waitcnt vmcnt(0)
	v_mul_f64 v[69:70], v[61:62], v[73:74]
	v_mul_f64 v[67:68], v[63:64], v[73:74]
	global_load_b128 v[73:76], v[12:13], off offset:3584
	v_fma_f64 v[63:64], v[63:64], v[71:72], -v[69:70]
	v_add_co_u32 v69, vcc_lo, v65, s4
	v_add_co_ci_u32_e32 v70, vcc_lo, s3, v66, vcc_lo
	v_fma_f64 v[61:62], v[61:62], v[71:72], v[67:68]
	global_load_b128 v[65:68], v[69:70], off
	s_waitcnt vmcnt(0)
	v_mul_f64 v[12:13], v[67:68], v[75:76]
	v_mul_f64 v[71:72], v[65:66], v[75:76]
	s_delay_alu instid0(VALU_DEP_2)
	v_fma_f64 v[65:66], v[65:66], v[73:74], v[12:13]
	v_add_co_u32 v12, vcc_lo, v69, s4
	v_add_co_ci_u32_e32 v13, vcc_lo, s3, v70, vcc_lo
	v_add_co_u32 v97, vcc_lo, 0x3000, v14
	v_add_co_ci_u32_e32 v98, vcc_lo, 0, v15, vcc_lo
	v_fma_f64 v[67:68], v[67:68], v[73:74], -v[71:72]
	global_load_b128 v[69:72], v[12:13], off
	global_load_b128 v[77:80], v[97:98], off offset:1152
	scratch_store_b128 off, v[73:76], off offset:228 ; 16-byte Folded Spill
	s_waitcnt vmcnt(0)
	scratch_store_b128 off, v[77:80], off offset:308 ; 16-byte Folded Spill
	v_mul_f64 v[73:74], v[71:72], v[79:80]
	v_mul_f64 v[75:76], v[69:70], v[79:80]
	global_load_b128 v[79:82], v[10:11], off offset:2816
	scratch_store_b128 off, v[87:90], off offset:452 ; 16-byte Folded Spill
	v_fma_f64 v[69:70], v[69:70], v[77:78], v[73:74]
	v_add_co_u32 v73, vcc_lo, v12, s4
	v_add_co_ci_u32_e32 v74, vcc_lo, s3, v13, vcc_lo
	v_fma_f64 v[71:72], v[71:72], v[77:78], -v[75:76]
	global_load_b128 v[10:13], v[73:74], off
	s_waitcnt vmcnt(1)
	scratch_store_b128 off, v[79:82], off offset:340 ; 16-byte Folded Spill
	s_waitcnt vmcnt(0)
	v_mul_f64 v[77:78], v[10:11], v[81:82]
	v_mul_f64 v[75:76], v[12:13], v[81:82]
	s_delay_alu instid0(VALU_DEP_2)
	v_fma_f64 v[12:13], v[12:13], v[79:80], -v[77:78]
	v_add_co_u32 v77, vcc_lo, v73, s4
	v_add_co_ci_u32_e32 v78, vcc_lo, s3, v74, vcc_lo
	v_add_co_u32 v105, vcc_lo, 0x6000, v14
	v_add_co_ci_u32_e32 v106, vcc_lo, 0, v15, vcc_lo
	v_fma_f64 v[10:11], v[10:11], v[79:80], v[75:76]
	global_load_b128 v[87:90], v[105:106], off offset:384
	global_load_b128 v[73:76], v[77:78], off
	s_clause 0x1
	global_load_b128 v[107:110], v32, s[8:9] offset:3840
	global_load_b128 v[119:122], v[4:5], off offset:640
	s_mov_b32 s9, 0xbfe2cf23
	s_waitcnt vmcnt(3)
	scratch_store_b128 off, v[87:90], off offset:356 ; 16-byte Folded Spill
	s_waitcnt vmcnt(2)
	v_mul_f64 v[81:82], v[73:74], v[89:90]
	v_mul_f64 v[79:80], v[75:76], v[89:90]
	s_waitcnt vmcnt(1)
	scratch_store_b128 off, v[107:110], off offset:164 ; 16-byte Folded Spill
	s_waitcnt vmcnt(0)
	scratch_store_b128 off, v[119:122], off offset:84 ; 16-byte Folded Spill
	v_fma_f64 v[75:76], v[75:76], v[87:88], -v[81:82]
	v_mad_u64_u32 v[81:82], null, 0x2d00, s12, v[77:78]
	v_fma_f64 v[73:74], v[73:74], v[87:88], v[79:80]
	global_load_b128 v[87:90], v[8:9], off offset:3712
	v_mov_b32_e32 v77, v82
	s_delay_alu instid0(VALU_DEP_1) | instskip(NEXT) | instid1(VALU_DEP_1)
	v_mad_u64_u32 v[78:79], null, 0x2d00, s13, v[77:78]
	v_mov_b32_e32 v82, v78
	global_load_b128 v[77:80], v[81:82], off
	s_waitcnt vmcnt(0)
	v_mul_f64 v[8:9], v[79:80], v[89:90]
	v_mul_f64 v[83:84], v[77:78], v[89:90]
	s_delay_alu instid0(VALU_DEP_2)
	v_fma_f64 v[77:78], v[77:78], v[87:88], v[8:9]
	v_add_co_u32 v8, vcc_lo, v81, s4
	v_add_co_ci_u32_e32 v9, vcc_lo, s3, v82, vcc_lo
	v_add_co_u32 v113, vcc_lo, 0xa000, v14
	v_add_co_ci_u32_e32 v114, vcc_lo, 0, v15, vcc_lo
	v_fma_f64 v[79:80], v[79:80], v[87:88], -v[83:84]
	global_load_b128 v[81:84], v[8:9], off
	v_add_co_u32 v8, vcc_lo, v8, s4
	global_load_b128 v[91:94], v[113:114], off offset:1280
	scratch_store_b128 off, v[87:90], off offset:260 ; 16-byte Folded Spill
	v_add_co_ci_u32_e32 v9, vcc_lo, s3, v9, vcc_lo
	s_waitcnt vmcnt(0)
	scratch_store_b128 off, v[91:94], off offset:292 ; 16-byte Folded Spill
	v_mul_f64 v[87:88], v[83:84], v[93:94]
	v_mul_f64 v[89:90], v[81:82], v[93:94]
	global_load_b128 v[93:96], v[85:86], off offset:2944
	v_fma_f64 v[81:82], v[81:82], v[91:92], v[87:88]
	global_load_b128 v[85:88], v[8:9], off
	v_add_co_u32 v8, vcc_lo, v8, s4
	v_add_co_ci_u32_e32 v9, vcc_lo, s3, v9, vcc_lo
	v_add_co_u32 v14, vcc_lo, 0xd000, v14
	v_add_co_ci_u32_e32 v15, vcc_lo, 0, v15, vcc_lo
	global_load_b128 v[99:102], v[14:15], off offset:512
	v_fma_f64 v[83:84], v[83:84], v[91:92], -v[89:90]
	s_waitcnt vmcnt(2)
	scratch_store_b128 off, v[93:96], off offset:244 ; 16-byte Folded Spill
	s_waitcnt vmcnt(1)
	v_mul_f64 v[89:90], v[87:88], v[95:96]
	v_mul_f64 v[91:92], v[85:86], v[95:96]
	s_waitcnt vmcnt(0)
	scratch_store_b128 off, v[99:102], off offset:180 ; 16-byte Folded Spill
	v_fma_f64 v[85:86], v[85:86], v[93:94], v[89:90]
	v_fma_f64 v[87:88], v[87:88], v[93:94], -v[91:92]
	global_load_b128 v[89:92], v[8:9], off
	s_waitcnt vmcnt(0)
	v_mul_f64 v[93:94], v[91:92], v[101:102]
	v_mul_f64 v[95:96], v[89:90], v[101:102]
	s_delay_alu instid0(VALU_DEP_2) | instskip(NEXT) | instid1(VALU_DEP_2)
	v_fma_f64 v[89:90], v[89:90], v[99:100], v[93:94]
	v_fma_f64 v[91:92], v[91:92], v[99:100], -v[95:96]
	v_mad_u64_u32 v[99:100], null, 0xffff3d00, s12, v[8:9]
	s_mov_b32 s12, 0x372fe950
	s_mov_b32 s13, 0x3fd3c6ef
	;; [unrolled: 1-line block ×3, first 2 shown]
	s_delay_alu instid0(VALU_DEP_1)
	v_add_nc_u32_e32 v100, s2, v100
	global_load_b128 v[93:96], v[99:100], off
	v_add_co_u32 v99, vcc_lo, v99, s4
	v_add_co_ci_u32_e32 v100, vcc_lo, s3, v100, vcc_lo
	s_waitcnt vmcnt(0)
	v_mul_f64 v[8:9], v[95:96], v[109:110]
	v_mul_f64 v[101:102], v[93:94], v[109:110]
	s_delay_alu instid0(VALU_DEP_2) | instskip(NEXT) | instid1(VALU_DEP_2)
	v_fma_f64 v[93:94], v[93:94], v[107:108], v[8:9]
	v_fma_f64 v[95:96], v[95:96], v[107:108], -v[101:102]
	global_load_b128 v[107:110], v[6:7], off offset:1408
	global_load_b128 v[6:9], v[99:100], off
	s_waitcnt vmcnt(1)
	scratch_store_b128 off, v[107:110], off offset:68 ; 16-byte Folded Spill
	s_waitcnt vmcnt(0)
	v_mul_f64 v[101:102], v[8:9], v[109:110]
	v_mul_f64 v[103:104], v[6:7], v[109:110]
	global_load_b128 v[109:112], v[97:98], off offset:3072
	v_fma_f64 v[6:7], v[6:7], v[107:108], v[101:102]
	v_add_co_u32 v101, vcc_lo, v99, s4
	v_add_co_ci_u32_e32 v102, vcc_lo, s3, v100, vcc_lo
	v_fma_f64 v[8:9], v[8:9], v[107:108], -v[103:104]
	global_load_b128 v[97:100], v[101:102], off
	s_waitcnt vmcnt(1)
	scratch_store_b128 off, v[109:112], off offset:100 ; 16-byte Folded Spill
	s_waitcnt vmcnt(0)
	v_mul_f64 v[107:108], v[97:98], v[111:112]
	v_mul_f64 v[103:104], v[99:100], v[111:112]
	s_delay_alu instid0(VALU_DEP_2) | instskip(SKIP_2) | instid1(VALU_DEP_4)
	v_fma_f64 v[99:100], v[99:100], v[109:110], -v[107:108]
	v_add_co_u32 v107, vcc_lo, v101, s4
	v_add_co_ci_u32_e32 v108, vcc_lo, s3, v102, vcc_lo
	v_fma_f64 v[97:98], v[97:98], v[109:110], v[103:104]
	global_load_b128 v[101:104], v[107:108], off
	s_waitcnt vmcnt(0)
	v_mul_f64 v[4:5], v[103:104], v[121:122]
	v_mul_f64 v[109:110], v[101:102], v[121:122]
	s_delay_alu instid0(VALU_DEP_2) | instskip(SKIP_2) | instid1(VALU_DEP_4)
	v_fma_f64 v[101:102], v[101:102], v[119:120], v[4:5]
	v_add_co_u32 v4, vcc_lo, v107, s4
	v_add_co_ci_u32_e32 v5, vcc_lo, s3, v108, vcc_lo
	v_fma_f64 v[103:104], v[103:104], v[119:120], -v[109:110]
	global_load_b128 v[119:122], v[105:106], off offset:2304
	global_load_b128 v[105:108], v[4:5], off
	v_add_co_u32 v4, vcc_lo, v4, s4
	v_add_co_ci_u32_e32 v5, vcc_lo, s3, v5, vcc_lo
	s_waitcnt vmcnt(1)
	scratch_store_b128 off, v[119:122], off offset:116 ; 16-byte Folded Spill
	s_waitcnt vmcnt(0)
	v_mul_f64 v[109:110], v[107:108], v[121:122]
	v_mul_f64 v[111:112], v[105:106], v[121:122]
	s_delay_alu instid0(VALU_DEP_2) | instskip(NEXT) | instid1(VALU_DEP_2)
	v_fma_f64 v[105:106], v[105:106], v[119:120], v[109:110]
	v_fma_f64 v[107:108], v[107:108], v[119:120], -v[111:112]
	global_load_b128 v[119:122], v[0:1], off offset:3968
	global_load_b128 v[109:112], v[4:5], off
	v_add_co_u32 v4, vcc_lo, v4, s4
	v_add_co_ci_u32_e32 v5, vcc_lo, s3, v5, vcc_lo
	s_waitcnt vmcnt(1)
	scratch_store_b128 off, v[119:122], off offset:20 ; 16-byte Folded Spill
	s_waitcnt vmcnt(0)
	v_mul_f64 v[0:1], v[111:112], v[121:122]
	v_mul_f64 v[115:116], v[109:110], v[121:122]
	global_load_b128 v[121:124], v[2:3], off offset:1536
	v_fma_f64 v[109:110], v[109:110], v[119:120], v[0:1]
	global_load_b128 v[0:3], v[4:5], off
	v_fma_f64 v[111:112], v[111:112], v[119:120], -v[115:116]
	v_add_co_u32 v4, vcc_lo, v4, s4
	v_add_co_ci_u32_e32 v5, vcc_lo, s3, v5, vcc_lo
	s_waitcnt vmcnt(1)
	scratch_store_b128 off, v[121:124], off offset:36 ; 16-byte Folded Spill
	s_waitcnt vmcnt(0)
	v_mul_f64 v[115:116], v[2:3], v[123:124]
	v_mul_f64 v[119:120], v[0:1], v[123:124]
	global_load_b128 v[123:126], v[113:114], off offset:3200
	v_fma_f64 v[0:1], v[0:1], v[121:122], v[115:116]
	global_load_b128 v[113:116], v[4:5], off
	v_fma_f64 v[2:3], v[2:3], v[121:122], -v[119:120]
	;; [unrolled: 11-line block ×3, first 2 shown]
	v_add_co_u32 v4, vcc_lo, v4, s4
	v_add_co_ci_u32_e32 v5, vcc_lo, s3, v5, vcc_lo
	v_cmp_gt_u16_e64 vcc_lo, 0x64, v239
	s_mov_b32 s2, 0x4755a5e
	s_mov_b32 s3, 0x3fe2cf23
	;; [unrolled: 1-line block ×3, first 2 shown]
	s_waitcnt vmcnt(1)
	scratch_store_b128 off, v[125:128], off offset:132 ; 16-byte Folded Spill
	s_waitcnt vmcnt(0)
	v_mul_f64 v[121:122], v[119:120], v[127:128]
	v_mul_f64 v[123:124], v[117:118], v[127:128]
	s_delay_alu instid0(VALU_DEP_2) | instskip(NEXT) | instid1(VALU_DEP_2)
	v_fma_f64 v[117:118], v[117:118], v[125:126], v[121:122]
	v_fma_f64 v[119:120], v[119:120], v[125:126], -v[123:124]
	global_load_b128 v[125:128], v[14:15], off offset:2432
	global_load_b128 v[121:124], v[4:5], off
	s_waitcnt vmcnt(1)
	scratch_store_b128 off, v[125:128], off offset:148 ; 16-byte Folded Spill
	s_waitcnt vmcnt(0)
	v_mul_f64 v[4:5], v[123:124], v[127:128]
	v_mul_f64 v[14:15], v[121:122], v[127:128]
	s_delay_alu instid0(VALU_DEP_2) | instskip(NEXT) | instid1(VALU_DEP_2)
	v_fma_f64 v[121:122], v[121:122], v[125:126], v[4:5]
	v_fma_f64 v[123:124], v[123:124], v[125:126], -v[14:15]
	ds_store_b128 v32, v[16:19]
	ds_store_b128 v32, v[20:23] offset:30720
	ds_store_b128 v32, v[24:27] offset:5760
	;; [unrolled: 1-line block ×29, first 2 shown]
	s_load_b128 s[4:7], s[6:7], 0x0
	s_waitcnt lgkmcnt(0)
	s_waitcnt_vscnt null, 0x0
	s_barrier
	buffer_gl0_inv
	ds_load_b128 v[8:11], v32 offset:11520
	ds_load_b128 v[0:3], v32
	ds_load_b128 v[16:19], v32 offset:23040
	ds_load_b128 v[12:15], v32 offset:46080
	;; [unrolled: 1-line block ×3, first 2 shown]
	s_waitcnt lgkmcnt(3)
	v_add_f64 v[24:25], v[0:1], v[8:9]
	v_add_f64 v[26:27], v[2:3], v[10:11]
	s_waitcnt lgkmcnt(2)
	v_add_f64 v[4:5], v[16:17], -v[8:9]
	v_add_f64 v[28:29], v[8:9], -v[16:17]
	;; [unrolled: 1-line block ×4, first 2 shown]
	s_waitcnt lgkmcnt(0)
	v_add_f64 v[196:197], v[16:17], v[36:37]
	v_add_f64 v[202:203], v[18:19], v[38:39]
	;; [unrolled: 1-line block ×4, first 2 shown]
	v_add_f64 v[20:21], v[10:11], -v[14:15]
	v_add_f64 v[22:23], v[8:9], -v[12:13]
	;; [unrolled: 1-line block ×3, first 2 shown]
	v_add_f64 v[40:41], v[24:25], v[16:17]
	v_add_f64 v[42:43], v[26:27], v[18:19]
	v_add_f64 v[24:25], v[18:19], -v[38:39]
	v_add_f64 v[26:27], v[16:17], -v[36:37]
	scratch_store_b64 off, v[4:5], off offset:488 ; 8-byte Folded Spill
	v_fma_f64 v[196:197], v[196:197], -0.5, v[0:1]
	v_fma_f64 v[210:211], v[198:199], -0.5, v[0:1]
	;; [unrolled: 1-line block ×4, first 2 shown]
	v_add_f64 v[44:45], v[34:35], v[44:45]
	v_add_f64 v[16:17], v[40:41], v[36:37]
	;; [unrolled: 1-line block ×3, first 2 shown]
	v_add_f64 v[40:41], v[12:13], -v[36:37]
	v_add_f64 v[36:37], v[36:37], -v[12:13]
	;; [unrolled: 1-line block ×3, first 2 shown]
	v_add_f64 v[180:181], v[16:17], v[12:13]
	v_add_f64 v[182:183], v[18:19], v[14:15]
	ds_load_b128 v[12:15], v32 offset:5760
	ds_load_b128 v[16:19], v32 offset:17280
	;; [unrolled: 1-line block ×4, first 2 shown]
	s_waitcnt lgkmcnt(2)
	v_add_f64 v[42:43], v[12:13], v[16:17]
	v_add_f64 v[58:59], v[14:15], v[18:19]
	s_waitcnt lgkmcnt(1)
	v_add_f64 v[206:207], v[16:17], v[46:47]
	v_add_f64 v[204:205], v[18:19], v[48:49]
	v_add_f64 v[54:55], v[18:19], -v[48:49]
	s_waitcnt lgkmcnt(0)
	v_add_f64 v[94:95], v[16:17], -v[50:51]
	v_add_f64 v[80:81], v[50:51], -v[16:17]
	;; [unrolled: 1-line block ×5, first 2 shown]
	ds_load_b128 v[16:19], v32 offset:40320
	s_waitcnt lgkmcnt(0)
	v_add_f64 v[188:189], v[50:51], v[16:17]
	v_add_f64 v[190:191], v[52:53], v[18:19]
	v_add_f64 v[60:61], v[52:53], -v[18:19]
	v_add_f64 v[106:107], v[46:47], -v[16:17]
	;; [unrolled: 1-line block ×5, first 2 shown]
	v_add_f64 v[42:43], v[42:43], v[50:51]
	v_add_f64 v[62:63], v[58:59], v[52:53]
	v_add_f64 v[58:59], v[50:51], -v[16:17]
	v_fma_f64 v[206:207], v[206:207], -0.5, v[12:13]
	v_fma_f64 v[204:205], v[204:205], -0.5, v[14:15]
	;; [unrolled: 1-line block ×4, first 2 shown]
	v_add_f64 v[106:107], v[94:95], v[106:107]
	v_add_f64 v[80:81], v[80:81], v[88:89]
	;; [unrolled: 1-line block ×6, first 2 shown]
	ds_load_b128 v[154:157], v32 offset:1920
	ds_load_b128 v[16:19], v32 offset:13440
	ds_load_b128 v[66:69], v32 offset:36480
	ds_load_b128 v[82:85], v32 offset:48000
	s_waitcnt lgkmcnt(0)
	v_add_f64 v[227:228], v[16:17], v[82:83]
	v_add_f64 v[229:230], v[18:19], v[84:85]
	v_add_f64 v[76:77], v[82:83], -v[66:67]
	v_add_f64 v[78:79], v[84:85], -v[68:69]
	v_add_f64 v[192:193], v[42:43], v[46:47]
	v_add_f64 v[42:43], v[154:155], v[16:17]
	;; [unrolled: 1-line block ×3, first 2 shown]
	ds_load_b128 v[46:49], v32 offset:24960
	v_add_f64 v[50:51], v[16:17], -v[82:83]
	s_waitcnt lgkmcnt(0)
	v_add_f64 v[64:65], v[16:17], -v[46:47]
	v_add_f64 v[52:53], v[46:47], -v[16:17]
	v_add_f64 v[225:226], v[48:49], v[68:69]
	v_add_f64 v[72:73], v[18:19], -v[48:49]
	v_add_f64 v[62:63], v[48:49], -v[18:19]
	v_add_f64 v[223:224], v[46:47], v[66:67]
	v_add_f64 v[219:220], v[180:181], v[192:193]
	;; [unrolled: 1-line block ×4, first 2 shown]
	v_add_f64 v[46:47], v[46:47], -v[66:67]
	v_add_f64 v[221:222], v[182:183], v[194:195]
	s_delay_alu instid0(VALU_DEP_4) | instskip(NEXT) | instid1(VALU_DEP_4)
	v_add_f64 v[16:17], v[70:71], v[66:67]
	v_add_f64 v[74:75], v[42:43], v[48:49]
	v_add_f64 v[42:43], v[48:49], -v[68:69]
	v_add_f64 v[48:49], v[18:19], -v[84:85]
	;; [unrolled: 1-line block ×3, first 2 shown]
	v_add_f64 v[231:232], v[16:17], v[82:83]
	v_add_f64 v[18:19], v[74:75], v[68:69]
	v_add_f64 v[68:69], v[68:69], -v[84:85]
	s_delay_alu instid0(VALU_DEP_4) | instskip(NEXT) | instid1(VALU_DEP_3)
	v_add_f64 v[52:53], v[52:53], v[66:67]
	v_add_f64 v[233:234], v[18:19], v[84:85]
	ds_load_b128 v[16:19], v32 offset:19200
	ds_load_b128 v[162:165], v32 offset:7680
	ds_load_b128 v[82:85], v32 offset:30720
	ds_load_b128 v[110:113], v32 offset:42240
	ds_load_b128 v[116:119], v32 offset:53760
	s_waitcnt lgkmcnt(3)
	v_add_f64 v[70:71], v[162:163], v[16:17]
	s_waitcnt lgkmcnt(2)
	v_add_f64 v[102:103], v[16:17], -v[82:83]
	s_waitcnt lgkmcnt(1)
	v_add_f64 v[235:236], v[82:83], v[110:111]
	v_add_f64 v[92:93], v[82:83], -v[16:17]
	v_add_f64 v[237:238], v[84:85], v[112:113]
	v_add_f64 v[74:75], v[82:83], -v[110:111]
	v_add_f64 v[114:115], v[18:19], -v[84:85]
	;; [unrolled: 1-line block ×3, first 2 shown]
	s_waitcnt lgkmcnt(0)
	v_add_f64 v[240:241], v[16:17], v[116:117]
	v_add_f64 v[242:243], v[18:19], v[118:119]
	v_add_f64 v[120:121], v[116:117], -v[110:111]
	v_add_f64 v[122:123], v[118:119], -v[112:113]
	v_add_f64 v[98:99], v[70:71], v[82:83]
	v_add_f64 v[70:71], v[164:165], v[18:19]
	v_add_f64 v[82:83], v[16:17], -v[116:117]
	v_fma_f64 v[190:191], v[240:241], -0.5, v[162:163]
	v_fma_f64 v[188:189], v[242:243], -0.5, v[164:165]
	v_add_f64 v[16:17], v[98:99], v[110:111]
	v_add_f64 v[104:105], v[70:71], v[84:85]
	v_add_f64 v[70:71], v[84:85], -v[112:113]
	v_add_f64 v[84:85], v[18:19], -v[118:119]
	;; [unrolled: 1-line block ×3, first 2 shown]
	v_add_f64 v[244:245], v[16:17], v[116:117]
	v_add_f64 v[18:19], v[104:105], v[112:113]
	v_add_f64 v[112:113], v[112:113], -v[118:119]
	s_delay_alu instid0(VALU_DEP_2)
	v_add_f64 v[246:247], v[18:19], v[118:119]
	ds_load_b128 v[168:171], v32 offset:3840
	ds_load_b128 v[16:19], v32 offset:15360
	;; [unrolled: 1-line block ×5, first 2 shown]
	s_waitcnt lgkmcnt(3)
	v_add_f64 v[98:99], v[168:169], v[16:17]
	s_waitcnt lgkmcnt(2)
	v_add_f64 v[128:129], v[16:17], -v[116:117]
	s_waitcnt lgkmcnt(1)
	v_add_f64 v[248:249], v[116:117], v[132:133]
	v_add_f64 v[124:125], v[116:117], -v[16:17]
	v_add_f64 v[250:251], v[118:119], v[134:135]
	v_add_f64 v[104:105], v[116:117], -v[132:133]
	v_add_f64 v[136:137], v[18:19], -v[118:119]
	;; [unrolled: 1-line block ×3, first 2 shown]
	s_waitcnt lgkmcnt(0)
	v_add_f64 v[252:253], v[16:17], v[144:145]
	v_add_f64 v[254:255], v[18:19], v[146:147]
	v_add_f64 v[140:141], v[144:145], -v[132:133]
	v_add_f64 v[142:143], v[146:147], -v[134:135]
	v_add_f64 v[130:131], v[98:99], v[116:117]
	v_add_f64 v[98:99], v[170:171], v[18:19]
	v_add_f64 v[116:117], v[18:19], -v[146:147]
	s_delay_alu instid0(VALU_DEP_2)
	v_add_f64 v[138:139], v[98:99], v[118:119]
	v_add_f64 v[98:99], v[118:119], -v[134:135]
	v_add_f64 v[118:119], v[16:17], -v[144:145]
	v_add_f64 v[16:17], v[130:131], v[132:133]
	v_add_f64 v[132:133], v[132:133], -v[144:145]
	v_add_f64 v[18:19], v[138:139], v[134:135]
	v_add_f64 v[134:135], v[134:135], -v[146:147]
	s_delay_alu instid0(VALU_DEP_4) | instskip(NEXT) | instid1(VALU_DEP_3)
	v_add_f64 v[4:5], v[16:17], v[144:145]
	v_add_f64 v[200:201], v[18:19], v[146:147]
	ds_load_b128 v[215:218], v32 offset:9600
	ds_load_b128 v[16:19], v32 offset:21120
	;; [unrolled: 1-line block ×5, first 2 shown]
	s_waitcnt lgkmcnt(0)
	s_waitcnt_vscnt null, 0x0
	s_barrier
	buffer_gl0_inv
	v_add_f64 v[130:131], v[215:216], v[16:17]
	v_add_f64 v[152:153], v[16:17], -v[144:145]
	v_add_f64 v[8:9], v[144:145], v[158:159]
	v_add_f64 v[148:149], v[144:145], -v[16:17]
	v_add_f64 v[138:139], v[144:145], -v[158:159]
	v_add_f64 v[186:187], v[16:17], v[172:173]
	v_add_f64 v[10:11], v[146:147], v[160:161]
	v_add_f64 v[166:167], v[18:19], -v[146:147]
	v_add_f64 v[150:151], v[146:147], -v[18:19]
	v_add_f64 v[184:185], v[18:19], v[174:175]
	v_add_f64 v[176:177], v[130:131], v[144:145]
	;; [unrolled: 1-line block ×3, first 2 shown]
	v_add_f64 v[144:145], v[16:17], -v[172:173]
	s_delay_alu instid0(VALU_DEP_3) | instskip(NEXT) | instid1(VALU_DEP_3)
	v_add_f64 v[16:17], v[176:177], v[158:159]
	v_add_f64 v[178:179], v[130:131], v[146:147]
	v_add_f64 v[130:131], v[146:147], -v[160:161]
	v_add_f64 v[146:147], v[18:19], -v[174:175]
	;; [unrolled: 1-line block ×4, first 2 shown]
	v_add_f64 v[172:173], v[16:17], v[172:173]
	v_add_f64 v[18:19], v[178:179], v[160:161]
	v_add_f64 v[178:179], v[174:175], -v[160:161]
	v_add_f64 v[160:161], v[160:161], -v[174:175]
	;; [unrolled: 1-line block ×3, first 2 shown]
	v_fma_f64 v[192:193], v[229:230], -0.5, v[156:157]
	v_fma_f64 v[180:181], v[223:224], -0.5, v[154:155]
	;; [unrolled: 1-line block ×5, first 2 shown]
	v_add_f64 v[10:11], v[233:234], v[246:247]
	v_add_f64 v[0:1], v[4:5], v[172:173]
	;; [unrolled: 1-line block ×3, first 2 shown]
	v_add_f64 v[18:19], v[182:183], -v[194:195]
	v_add_f64 v[12:13], v[4:5], -v[172:173]
	v_mul_lo_u16 v4, v239, 10
	v_fma_f64 v[182:183], v[225:226], -0.5, v[156:157]
	v_fma_f64 v[156:157], v[250:251], -0.5, v[170:171]
	v_fma_f64 v[225:226], v[237:238], -0.5, v[164:165]
	v_fma_f64 v[194:195], v[227:228], -0.5, v[154:155]
	v_and_b32_e32 v4, 0xffff, v4
	v_fma_f64 v[164:165], v[8:9], -0.5, v[215:216]
	v_fma_f64 v[154:155], v[248:249], -0.5, v[168:169]
	;; [unrolled: 1-line block ×4, first 2 shown]
	v_lshlrev_b32_e32 v251, 4, v4
	ds_store_b128 v251, v[219:222]
	ds_store_b128 v251, v[16:19] offset:80
	v_add_f64 v[4:5], v[28:29], v[40:41]
	scratch_load_b64 v[28:29], off, off offset:488 ; 8-byte Folded Reload
	v_fma_f64 v[16:17], v[54:55], s[14:15], v[202:203]
	v_fma_f64 v[18:19], v[56:57], s[16:17], v[6:7]
	;; [unrolled: 1-line block ×3, first 2 shown]
	v_fma_f64 v[170:171], v[186:187], -0.5, v[215:216]
	v_add_f64 v[8:9], v[231:232], v[244:245]
	v_add_f64 v[2:3], v[200:201], v[174:175]
	v_add_f64 v[215:216], v[231:232], -v[244:245]
	v_add_f64 v[217:218], v[233:234], -v[246:247]
	;; [unrolled: 1-line block ×3, first 2 shown]
	v_fma_f64 v[16:17], v[60:61], s[2:3], v[16:17]
	v_fma_f64 v[18:19], v[58:59], s[8:9], v[18:19]
	v_fma_f64 v[6:7], v[58:59], s[2:3], v[6:7]
	s_delay_alu instid0(VALU_DEP_3) | instskip(NEXT) | instid1(VALU_DEP_3)
	v_fma_f64 v[16:17], v[106:107], s[12:13], v[16:17]
	v_fma_f64 v[18:19], v[108:109], s[12:13], v[18:19]
	s_delay_alu instid0(VALU_DEP_3) | instskip(SKIP_1) | instid1(VALU_DEP_4)
	v_fma_f64 v[6:7], v[108:109], s[12:13], v[6:7]
	v_add_f64 v[108:109], v[126:127], v[134:135]
	v_mul_f64 v[33:34], v[16:17], s[22:23]
	v_mul_f64 v[16:17], v[16:17], s[8:9]
	s_delay_alu instid0(VALU_DEP_2) | instskip(NEXT) | instid1(VALU_DEP_2)
	v_fma_f64 v[33:34], v[18:19], s[2:3], v[33:34]
	v_fma_f64 v[40:41], v[18:19], s[22:23], v[16:17]
	;; [unrolled: 1-line block ×4, first 2 shown]
	s_delay_alu instid0(VALU_DEP_2) | instskip(NEXT) | instid1(VALU_DEP_2)
	v_fma_f64 v[18:19], v[26:27], s[8:9], v[18:19]
	v_fma_f64 v[16:17], v[24:25], s[2:3], v[16:17]
	s_delay_alu instid0(VALU_DEP_2) | instskip(NEXT) | instid1(VALU_DEP_2)
	v_fma_f64 v[96:97], v[44:45], s[12:13], v[18:19]
	v_fma_f64 v[94:95], v[4:5], s[12:13], v[16:17]
	s_delay_alu instid0(VALU_DEP_2) | instskip(SKIP_1) | instid1(VALU_DEP_3)
	v_add_f64 v[18:19], v[96:97], v[40:41]
	v_add_f64 v[96:97], v[96:97], -v[40:41]
	v_add_f64 v[16:17], v[94:95], v[33:34]
	v_add_f64 v[94:95], v[94:95], -v[33:34]
	s_waitcnt vmcnt(0)
	v_add_f64 v[40:41], v[28:29], v[36:37]
	v_fma_f64 v[28:29], v[58:59], s[14:15], v[204:205]
	v_add_f64 v[37:38], v[30:31], v[38:39]
	v_fma_f64 v[30:31], v[60:61], s[16:17], v[206:207]
	s_delay_alu instid0(VALU_DEP_3) | instskip(NEXT) | instid1(VALU_DEP_2)
	v_fma_f64 v[28:29], v[56:57], s[8:9], v[28:29]
	v_fma_f64 v[30:31], v[54:55], s[2:3], v[30:31]
	s_delay_alu instid0(VALU_DEP_2) | instskip(NEXT) | instid1(VALU_DEP_2)
	v_fma_f64 v[28:29], v[86:87], s[12:13], v[28:29]
	v_fma_f64 v[30:31], v[80:81], s[12:13], v[30:31]
	s_delay_alu instid0(VALU_DEP_2) | instskip(NEXT) | instid1(VALU_DEP_1)
	v_mul_f64 v[33:34], v[28:29], s[14:15]
	v_fma_f64 v[33:34], v[30:31], s[12:13], v[33:34]
	v_mul_f64 v[30:31], v[30:31], s[16:17]
	s_delay_alu instid0(VALU_DEP_1) | instskip(SKIP_2) | instid1(VALU_DEP_2)
	v_fma_f64 v[35:36], v[28:29], s[12:13], v[30:31]
	v_fma_f64 v[28:29], v[24:25], s[16:17], v[210:211]
	;; [unrolled: 1-line block ×4, first 2 shown]
	s_delay_alu instid0(VALU_DEP_2) | instskip(NEXT) | instid1(VALU_DEP_2)
	v_fma_f64 v[30:31], v[22:23], s[8:9], v[30:31]
	v_fma_f64 v[88:89], v[40:41], s[12:13], v[28:29]
	s_delay_alu instid0(VALU_DEP_2) | instskip(NEXT) | instid1(VALU_DEP_2)
	v_fma_f64 v[90:91], v[37:38], s[12:13], v[30:31]
	v_add_f64 v[28:29], v[88:89], v[33:34]
	v_add_f64 v[33:34], v[88:89], -v[33:34]
	v_fma_f64 v[88:89], v[24:25], s[14:15], v[210:211]
	s_delay_alu instid0(VALU_DEP_4) | instskip(SKIP_1) | instid1(VALU_DEP_3)
	v_add_f64 v[30:31], v[90:91], v[35:36]
	v_add_f64 v[35:36], v[90:91], -v[35:36]
	v_fma_f64 v[88:89], v[20:21], s[8:9], v[88:89]
	v_fma_f64 v[20:21], v[20:21], s[16:17], v[196:197]
	s_delay_alu instid0(VALU_DEP_2) | instskip(SKIP_1) | instid1(VALU_DEP_3)
	v_fma_f64 v[88:89], v[40:41], s[12:13], v[88:89]
	v_fma_f64 v[39:40], v[26:27], s[16:17], v[208:209]
	;; [unrolled: 1-line block ×3, first 2 shown]
	s_delay_alu instid0(VALU_DEP_2) | instskip(SKIP_1) | instid1(VALU_DEP_3)
	v_fma_f64 v[39:40], v[22:23], s[2:3], v[39:40]
	v_fma_f64 v[22:23], v[22:23], s[14:15], v[198:199]
	;; [unrolled: 1-line block ×3, first 2 shown]
	s_delay_alu instid0(VALU_DEP_3) | instskip(SKIP_1) | instid1(VALU_DEP_4)
	v_fma_f64 v[90:91], v[37:38], s[12:13], v[39:40]
	v_fma_f64 v[37:38], v[60:61], s[14:15], v[206:207]
	;; [unrolled: 1-line block ×4, first 2 shown]
	s_delay_alu instid0(VALU_DEP_3) | instskip(SKIP_1) | instid1(VALU_DEP_4)
	v_fma_f64 v[37:38], v[54:55], s[8:9], v[37:38]
	v_fma_f64 v[54:55], v[54:55], s[16:17], v[202:203]
	;; [unrolled: 1-line block ×3, first 2 shown]
	s_delay_alu instid0(VALU_DEP_4) | instskip(SKIP_3) | instid1(VALU_DEP_4)
	v_fma_f64 v[39:40], v[56:57], s[2:3], v[39:40]
	v_fma_f64 v[56:57], v[82:83], s[16:17], v[225:226]
	;; [unrolled: 1-line block ×5, first 2 shown]
	s_delay_alu instid0(VALU_DEP_4) | instskip(NEXT) | instid1(VALU_DEP_4)
	v_fma_f64 v[56:57], v[74:75], s[8:9], v[56:57]
	v_mul_f64 v[80:81], v[37:38], s[18:19]
	s_delay_alu instid0(VALU_DEP_4) | instskip(SKIP_2) | instid1(VALU_DEP_4)
	v_fma_f64 v[24:25], v[106:107], s[12:13], v[54:55]
	v_fma_f64 v[54:55], v[84:85], s[14:15], v[223:224]
	v_add_f64 v[106:107], v[124:125], v[132:133]
	v_fma_f64 v[80:81], v[39:40], s[14:15], v[80:81]
	s_delay_alu instid0(VALU_DEP_4) | instskip(NEXT) | instid1(VALU_DEP_4)
	v_mul_f64 v[20:21], v[24:25], s[20:21]
	v_fma_f64 v[54:55], v[70:71], s[2:3], v[54:55]
	v_mul_f64 v[39:40], v[39:40], s[18:19]
	s_delay_alu instid0(VALU_DEP_4) | instskip(NEXT) | instid1(VALU_DEP_4)
	v_add_f64 v[86:87], v[88:89], -v[80:81]
	v_fma_f64 v[44:45], v[6:7], s[2:3], v[20:21]
	v_mul_f64 v[6:7], v[6:7], s[20:21]
	s_delay_alu instid0(VALU_DEP_4)
	v_fma_f64 v[172:173], v[37:38], s[16:17], v[39:40]
	v_add_f64 v[37:38], v[88:89], v[80:81]
	v_add_f64 v[80:81], v[100:101], v[112:113]
	;; [unrolled: 1-line block ×3, first 2 shown]
	v_add_co_u32 v151, null, 0x78, v213
	v_add_co_u32 v150, null, 0xf0, v213
	v_add_f64 v[20:21], v[4:5], v[44:45]
	v_fma_f64 v[6:7], v[24:25], s[8:9], v[6:7]
	v_add_f64 v[24:25], v[4:5], -v[44:45]
	v_add_f64 v[44:45], v[102:103], v[120:121]
	v_add_f64 v[4:5], v[64:65], v[76:77]
	;; [unrolled: 1-line block ×3, first 2 shown]
	v_add_f64 v[88:89], v[90:91], -v[172:173]
	v_add_f64 v[22:23], v[26:27], v[6:7]
	v_add_f64 v[26:27], v[26:27], -v[6:7]
	v_add_f64 v[6:7], v[72:73], v[78:79]
	v_add_f64 v[72:73], v[114:115], v[122:123]
	v_fma_f64 v[54:55], v[44:45], s[12:13], v[54:55]
	v_add_f64 v[78:79], v[92:93], v[110:111]
	v_add_f64 v[110:111], v[148:149], v[158:159]
	ds_store_b128 v251, v[16:19] offset:16
	ds_store_b128 v251, v[28:31] offset:32
	;; [unrolled: 1-line block ×8, first 2 shown]
	v_fma_f64 v[56:57], v[72:73], s[12:13], v[56:57]
	v_mul_f64 v[58:59], v[54:55], s[22:23]
	v_mul_f64 v[54:55], v[54:55], s[8:9]
	s_delay_alu instid0(VALU_DEP_2) | instskip(NEXT) | instid1(VALU_DEP_2)
	v_fma_f64 v[58:59], v[56:57], s[2:3], v[58:59]
	v_fma_f64 v[60:61], v[56:57], s[22:23], v[54:55]
	;; [unrolled: 1-line block ×4, first 2 shown]
	s_delay_alu instid0(VALU_DEP_2) | instskip(NEXT) | instid1(VALU_DEP_2)
	v_fma_f64 v[56:57], v[46:47], s[8:9], v[56:57]
	v_fma_f64 v[54:55], v[42:43], s[2:3], v[54:55]
	s_delay_alu instid0(VALU_DEP_2) | instskip(NEXT) | instid1(VALU_DEP_2)
	v_fma_f64 v[76:77], v[6:7], s[12:13], v[56:57]
	v_fma_f64 v[64:65], v[4:5], s[12:13], v[54:55]
	s_delay_alu instid0(VALU_DEP_2)
	v_add_f64 v[56:57], v[76:77], v[60:61]
	v_add_f64 v[60:61], v[76:77], -v[60:61]
	v_add_f64 v[76:77], v[62:63], v[68:69]
	v_fma_f64 v[62:63], v[74:75], s[14:15], v[188:189]
	v_add_f64 v[54:55], v[64:65], v[58:59]
	v_add_f64 v[58:59], v[64:65], -v[58:59]
	v_fma_f64 v[64:65], v[70:71], s[16:17], v[190:191]
	s_delay_alu instid0(VALU_DEP_4) | instskip(NEXT) | instid1(VALU_DEP_2)
	v_fma_f64 v[62:63], v[82:83], s[8:9], v[62:63]
	v_fma_f64 v[64:65], v[84:85], s[2:3], v[64:65]
	s_delay_alu instid0(VALU_DEP_2) | instskip(NEXT) | instid1(VALU_DEP_2)
	v_fma_f64 v[62:63], v[80:81], s[12:13], v[62:63]
	v_fma_f64 v[64:65], v[78:79], s[12:13], v[64:65]
	s_delay_alu instid0(VALU_DEP_2) | instskip(NEXT) | instid1(VALU_DEP_1)
	v_mul_f64 v[66:67], v[62:63], s[14:15]
	v_fma_f64 v[66:67], v[64:65], s[12:13], v[66:67]
	v_mul_f64 v[64:65], v[64:65], s[16:17]
	s_delay_alu instid0(VALU_DEP_1) | instskip(SKIP_2) | instid1(VALU_DEP_2)
	v_fma_f64 v[68:69], v[62:63], s[12:13], v[64:65]
	v_fma_f64 v[62:63], v[42:43], s[16:17], v[194:195]
	;; [unrolled: 1-line block ×4, first 2 shown]
	s_delay_alu instid0(VALU_DEP_2) | instskip(NEXT) | instid1(VALU_DEP_2)
	v_fma_f64 v[64:65], v[50:51], s[8:9], v[64:65]
	v_fma_f64 v[90:91], v[52:53], s[12:13], v[62:63]
	s_delay_alu instid0(VALU_DEP_2) | instskip(NEXT) | instid1(VALU_DEP_2)
	v_fma_f64 v[92:93], v[76:77], s[12:13], v[64:65]
	v_add_f64 v[62:63], v[90:91], v[66:67]
	v_add_f64 v[66:67], v[90:91], -v[66:67]
	v_fma_f64 v[90:91], v[42:43], s[14:15], v[194:195]
	s_delay_alu instid0(VALU_DEP_4) | instskip(SKIP_1) | instid1(VALU_DEP_3)
	v_add_f64 v[64:65], v[92:93], v[68:69]
	v_add_f64 v[68:69], v[92:93], -v[68:69]
	v_fma_f64 v[90:91], v[48:49], s[8:9], v[90:91]
	v_fma_f64 v[48:49], v[48:49], s[16:17], v[180:181]
	s_delay_alu instid0(VALU_DEP_2) | instskip(SKIP_1) | instid1(VALU_DEP_3)
	v_fma_f64 v[52:53], v[52:53], s[12:13], v[90:91]
	v_fma_f64 v[90:91], v[46:47], s[16:17], v[192:193]
	;; [unrolled: 1-line block ×3, first 2 shown]
	s_delay_alu instid0(VALU_DEP_2) | instskip(SKIP_1) | instid1(VALU_DEP_3)
	v_fma_f64 v[90:91], v[50:51], s[2:3], v[90:91]
	v_fma_f64 v[50:51], v[50:51], s[14:15], v[182:183]
	;; [unrolled: 1-line block ×3, first 2 shown]
	s_delay_alu instid0(VALU_DEP_3) | instskip(SKIP_1) | instid1(VALU_DEP_4)
	v_fma_f64 v[92:93], v[76:77], s[12:13], v[90:91]
	v_fma_f64 v[76:77], v[70:71], s[14:15], v[190:191]
	;; [unrolled: 1-line block ×3, first 2 shown]
	s_delay_alu instid0(VALU_DEP_2) | instskip(NEXT) | instid1(VALU_DEP_2)
	v_fma_f64 v[76:77], v[84:85], s[8:9], v[76:77]
	v_fma_f64 v[6:7], v[6:7], s[12:13], v[46:47]
	s_delay_alu instid0(VALU_DEP_2) | instskip(SKIP_1) | instid1(VALU_DEP_1)
	v_fma_f64 v[76:77], v[78:79], s[12:13], v[76:77]
	v_fma_f64 v[78:79], v[74:75], s[16:17], v[188:189]
	;; [unrolled: 1-line block ×3, first 2 shown]
	s_delay_alu instid0(VALU_DEP_1) | instskip(NEXT) | instid1(VALU_DEP_4)
	v_fma_f64 v[78:79], v[80:81], s[12:13], v[78:79]
	v_mul_f64 v[80:81], v[76:77], s[18:19]
	s_delay_alu instid0(VALU_DEP_1) | instskip(SKIP_1) | instid1(VALU_DEP_2)
	v_fma_f64 v[80:81], v[78:79], s[14:15], v[80:81]
	v_mul_f64 v[78:79], v[78:79], s[18:19]
	v_add_f64 v[90:91], v[52:53], -v[80:81]
	s_delay_alu instid0(VALU_DEP_2)
	v_fma_f64 v[100:101], v[76:77], s[16:17], v[78:79]
	v_add_f64 v[76:77], v[52:53], v[80:81]
	v_fma_f64 v[80:81], v[82:83], s[14:15], v[225:226]
	v_fma_f64 v[52:53], v[84:85], s[16:17], v[223:224]
	v_add_f64 v[84:85], v[166:167], v[178:179]
	v_add_f64 v[78:79], v[92:93], v[100:101]
	v_add_f64 v[92:93], v[92:93], -v[100:101]
	v_fma_f64 v[48:49], v[74:75], s[2:3], v[80:81]
	v_fma_f64 v[52:53], v[70:71], s[8:9], v[52:53]
	v_add_f64 v[74:75], v[152:153], v[176:177]
	v_and_b32_e32 v152, 0xff, v151
	s_delay_alu instid0(VALU_DEP_4) | instskip(SKIP_3) | instid1(VALU_DEP_3)
	v_fma_f64 v[41:42], v[72:73], s[12:13], v[48:49]
	v_fma_f64 v[49:50], v[146:147], s[14:15], v[164:165]
	;; [unrolled: 1-line block ×5, first 2 shown]
	s_delay_alu instid0(VALU_DEP_3) | instskip(NEXT) | instid1(VALU_DEP_3)
	v_mul_f64 v[45:46], v[43:44], s[20:21]
	v_fma_f64 v[51:52], v[138:139], s[8:9], v[51:52]
	s_delay_alu instid0(VALU_DEP_3) | instskip(NEXT) | instid1(VALU_DEP_3)
	v_fma_f64 v[49:50], v[74:75], s[12:13], v[49:50]
	v_fma_f64 v[45:46], v[41:42], s[2:3], v[45:46]
	s_delay_alu instid0(VALU_DEP_3) | instskip(SKIP_1) | instid1(VALU_DEP_4)
	v_fma_f64 v[51:52], v[84:85], s[12:13], v[51:52]
	v_mul_f64 v[41:42], v[41:42], s[20:21]
	v_mul_f64 v[70:71], v[49:50], s[22:23]
	;; [unrolled: 1-line block ×3, first 2 shown]
	s_delay_alu instid0(VALU_DEP_3)
	v_fma_f64 v[47:48], v[43:44], s[8:9], v[41:42]
	v_add_f64 v[41:42], v[4:5], v[45:46]
	v_add_f64 v[45:46], v[4:5], -v[45:46]
	v_add_f64 v[4:5], v[128:129], v[140:141]
	v_fma_f64 v[70:71], v[51:52], s[2:3], v[70:71]
	v_fma_f64 v[72:73], v[51:52], s[22:23], v[49:50]
	;; [unrolled: 1-line block ×4, first 2 shown]
	v_add_f64 v[43:44], v[6:7], v[47:48]
	v_add_f64 v[47:48], v[6:7], -v[47:48]
	v_add_f64 v[6:7], v[136:137], v[142:143]
	v_fma_f64 v[49:50], v[98:99], s[2:3], v[49:50]
	v_fma_f64 v[51:52], v[104:105], s[8:9], v[51:52]
	s_delay_alu instid0(VALU_DEP_2) | instskip(NEXT) | instid1(VALU_DEP_2)
	v_fma_f64 v[80:81], v[4:5], s[12:13], v[49:50]
	v_fma_f64 v[82:83], v[6:7], s[12:13], v[51:52]
	s_delay_alu instid0(VALU_DEP_2) | instskip(SKIP_2) | instid1(VALU_DEP_4)
	v_add_f64 v[49:50], v[80:81], v[70:71]
	v_add_f64 v[70:71], v[80:81], -v[70:71]
	v_fma_f64 v[80:81], v[138:139], s[14:15], v[168:169]
	v_add_f64 v[51:52], v[82:83], v[72:73]
	v_add_f64 v[72:73], v[82:83], -v[72:73]
	v_fma_f64 v[82:83], v[130:131], s[16:17], v[170:171]
	s_delay_alu instid0(VALU_DEP_4) | instskip(NEXT) | instid1(VALU_DEP_2)
	v_fma_f64 v[80:81], v[144:145], s[8:9], v[80:81]
	v_fma_f64 v[82:83], v[146:147], s[2:3], v[82:83]
	s_delay_alu instid0(VALU_DEP_2) | instskip(NEXT) | instid1(VALU_DEP_2)
	v_fma_f64 v[80:81], v[112:113], s[12:13], v[80:81]
	v_fma_f64 v[82:83], v[110:111], s[12:13], v[82:83]
	s_delay_alu instid0(VALU_DEP_2) | instskip(NEXT) | instid1(VALU_DEP_1)
	v_mul_f64 v[100:101], v[80:81], s[14:15]
	v_fma_f64 v[100:101], v[82:83], s[12:13], v[100:101]
	v_mul_f64 v[82:83], v[82:83], s[16:17]
	s_delay_alu instid0(VALU_DEP_1) | instskip(SKIP_2) | instid1(VALU_DEP_2)
	v_fma_f64 v[102:103], v[80:81], s[12:13], v[82:83]
	v_fma_f64 v[80:81], v[98:99], s[16:17], v[229:230]
	;; [unrolled: 1-line block ×4, first 2 shown]
	s_delay_alu instid0(VALU_DEP_2) | instskip(NEXT) | instid1(VALU_DEP_2)
	v_fma_f64 v[82:83], v[118:119], s[8:9], v[82:83]
	v_fma_f64 v[114:115], v[106:107], s[12:13], v[80:81]
	s_delay_alu instid0(VALU_DEP_2) | instskip(NEXT) | instid1(VALU_DEP_2)
	v_fma_f64 v[120:121], v[108:109], s[12:13], v[82:83]
	v_add_f64 v[80:81], v[114:115], v[100:101]
	v_add_f64 v[100:101], v[114:115], -v[100:101]
	v_fma_f64 v[114:115], v[98:99], s[14:15], v[229:230]
	s_delay_alu instid0(VALU_DEP_4) | instskip(SKIP_1) | instid1(VALU_DEP_3)
	v_add_f64 v[82:83], v[120:121], v[102:103]
	v_add_f64 v[102:103], v[120:121], -v[102:103]
	v_fma_f64 v[114:115], v[116:117], s[8:9], v[114:115]
	v_fma_f64 v[116:117], v[116:117], s[16:17], v[154:155]
	v_mov_b32_e32 v154, v213
	s_delay_alu instid0(VALU_DEP_3) | instskip(SKIP_1) | instid1(VALU_DEP_4)
	v_fma_f64 v[114:115], v[106:107], s[12:13], v[114:115]
	v_fma_f64 v[106:107], v[104:105], s[16:17], v[227:228]
	;; [unrolled: 1-line block ×3, first 2 shown]
	s_delay_alu instid0(VALU_DEP_2) | instskip(SKIP_1) | instid1(VALU_DEP_3)
	v_fma_f64 v[106:107], v[118:119], s[2:3], v[106:107]
	v_fma_f64 v[118:119], v[118:119], s[14:15], v[156:157]
	;; [unrolled: 1-line block ×3, first 2 shown]
	s_delay_alu instid0(VALU_DEP_3) | instskip(SKIP_3) | instid1(VALU_DEP_3)
	v_fma_f64 v[120:121], v[108:109], s[12:13], v[106:107]
	v_fma_f64 v[106:107], v[130:131], s[14:15], v[170:171]
	;; [unrolled: 1-line block ×5, first 2 shown]
	s_delay_alu instid0(VALU_DEP_3) | instskip(NEXT) | instid1(VALU_DEP_3)
	v_fma_f64 v[108:109], v[144:145], s[2:3], v[108:109]
	v_fma_f64 v[6:7], v[6:7], s[12:13], v[104:105]
	s_delay_alu instid0(VALU_DEP_3) | instskip(NEXT) | instid1(VALU_DEP_3)
	v_fma_f64 v[106:107], v[110:111], s[12:13], v[106:107]
	v_fma_f64 v[108:109], v[112:113], s[12:13], v[108:109]
	s_delay_alu instid0(VALU_DEP_2) | instskip(NEXT) | instid1(VALU_DEP_1)
	v_mul_f64 v[110:111], v[106:107], s[18:19]
	v_fma_f64 v[110:111], v[108:109], s[14:15], v[110:111]
	v_mul_f64 v[108:109], v[108:109], s[18:19]
	s_delay_alu instid0(VALU_DEP_1) | instskip(NEXT) | instid1(VALU_DEP_3)
	v_fma_f64 v[112:113], v[106:107], s[16:17], v[108:109]
	v_add_f64 v[106:107], v[114:115], v[110:111]
	v_add_f64 v[110:111], v[114:115], -v[110:111]
	v_fma_f64 v[114:115], v[146:147], s[16:17], v[164:165]
	s_delay_alu instid0(VALU_DEP_4) | instskip(SKIP_2) | instid1(VALU_DEP_4)
	v_add_f64 v[108:109], v[120:121], v[112:113]
	v_add_f64 v[112:113], v[120:121], -v[112:113]
	v_fma_f64 v[120:121], v[144:145], s[14:15], v[162:163]
	v_fma_f64 v[114:115], v[130:131], s[8:9], v[114:115]
	s_delay_alu instid0(VALU_DEP_2) | instskip(NEXT) | instid1(VALU_DEP_2)
	v_fma_f64 v[116:117], v[138:139], s[2:3], v[120:121]
	v_fma_f64 v[74:75], v[74:75], s[12:13], v[114:115]
	s_delay_alu instid0(VALU_DEP_2) | instskip(NEXT) | instid1(VALU_DEP_2)
	v_fma_f64 v[84:85], v[84:85], s[12:13], v[116:117]
	v_mul_f64 v[98:99], v[74:75], s[20:21]
	s_delay_alu instid0(VALU_DEP_1) | instskip(SKIP_1) | instid1(VALU_DEP_2)
	v_fma_f64 v[98:99], v[84:85], s[2:3], v[98:99]
	v_mul_f64 v[84:85], v[84:85], s[20:21]
	v_add_f64 v[114:115], v[4:5], v[98:99]
	s_delay_alu instid0(VALU_DEP_2) | instskip(SKIP_2) | instid1(VALU_DEP_1)
	v_fma_f64 v[74:75], v[74:75], s[8:9], v[84:85]
	v_add_f64 v[118:119], v[4:5], -v[98:99]
	v_mul_u32_u24_e32 v4, 10, v151
	v_lshlrev_b32_e32 v238, 4, v4
	v_mul_u32_u24_e32 v4, 10, v150
	ds_store_b128 v238, v[8:11]
	ds_store_b128 v238, v[54:57] offset:16
	ds_store_b128 v238, v[62:65] offset:32
	;; [unrolled: 1-line block ×9, first 2 shown]
	v_lshlrev_b32_e32 v237, 4, v4
	v_add_f64 v[116:117], v[6:7], v[74:75]
	v_add_f64 v[120:121], v[6:7], -v[74:75]
	ds_store_b128 v237, v[0:3]
	ds_store_b128 v237, v[49:52] offset:16
	ds_store_b128 v237, v[80:83] offset:32
	;; [unrolled: 1-line block ×9, first 2 shown]
	v_and_b32_e32 v0, 0xff, v239
	s_waitcnt lgkmcnt(0)
	s_barrier
	buffer_gl0_inv
	v_mul_lo_u16 v0, 0xcd, v0
	s_delay_alu instid0(VALU_DEP_1) | instskip(NEXT) | instid1(VALU_DEP_1)
	v_lshrrev_b16 v33, 11, v0
	v_mul_lo_u16 v0, v33, 10
	v_and_b32_e32 v33, 0xffff, v33
	s_delay_alu instid0(VALU_DEP_2) | instskip(NEXT) | instid1(VALU_DEP_2)
	v_sub_nc_u16 v0, v239, v0
	v_mul_u32_u24_e32 v33, 0x64, v33
	s_delay_alu instid0(VALU_DEP_2)
	v_and_b32_e32 v157, 0xff, v0
	ds_load_b128 v[0:3], v32 offset:5760
	v_mad_u64_u32 v[4:5], null, 0x90, v157, s[10:11]
	v_add_lshl_u32 v212, v33, v157, 4
	global_load_b128 v[8:11], v[4:5], off
	s_waitcnt vmcnt(0) lgkmcnt(0)
	v_mul_f64 v[6:7], v[2:3], v[10:11]
	scratch_store_b128 off, v[8:11], off offset:488 ; 16-byte Folded Spill
	v_fma_f64 v[28:29], v[0:1], v[8:9], -v[6:7]
	v_mul_f64 v[0:1], v[0:1], v[10:11]
	s_delay_alu instid0(VALU_DEP_1)
	v_fma_f64 v[30:31], v[2:3], v[8:9], v[0:1]
	global_load_b128 v[8:11], v[4:5], off offset:16
	ds_load_b128 v[0:3], v32 offset:11520
	s_waitcnt vmcnt(0) lgkmcnt(0)
	v_mul_f64 v[6:7], v[2:3], v[10:11]
	scratch_store_b128 off, v[8:11], off offset:504 ; 16-byte Folded Spill
	v_fma_f64 v[36:37], v[0:1], v[8:9], -v[6:7]
	v_mul_f64 v[0:1], v[0:1], v[10:11]
	s_delay_alu instid0(VALU_DEP_1)
	v_fma_f64 v[38:39], v[2:3], v[8:9], v[0:1]
	global_load_b128 v[8:11], v[4:5], off offset:32
	ds_load_b128 v[0:3], v32 offset:17280
	;; [unrolled: 9-line block ×5, first 2 shown]
	s_waitcnt vmcnt(0) lgkmcnt(0)
	v_mul_f64 v[6:7], v[2:3], v[10:11]
	scratch_store_b128 off, v[8:11], off offset:568 ; 16-byte Folded Spill
	v_fma_f64 v[72:73], v[0:1], v[8:9], -v[6:7]
	v_mul_f64 v[0:1], v[0:1], v[10:11]
	s_delay_alu instid0(VALU_DEP_2) | instskip(NEXT) | instid1(VALU_DEP_2)
	v_add_f64 v[193:194], v[56:57], -v[72:73]
	v_fma_f64 v[74:75], v[2:3], v[8:9], v[0:1]
	global_load_b128 v[8:11], v[4:5], off offset:96
	ds_load_b128 v[0:3], v32 offset:40320
	v_add_f64 v[189:190], v[58:59], -v[74:75]
	s_waitcnt vmcnt(0) lgkmcnt(0)
	v_mul_f64 v[6:7], v[2:3], v[10:11]
	scratch_store_b128 off, v[8:11], off offset:584 ; 16-byte Folded Spill
	v_fma_f64 v[78:79], v[0:1], v[8:9], -v[6:7]
	v_mul_f64 v[0:1], v[0:1], v[10:11]
	s_delay_alu instid0(VALU_DEP_2) | instskip(NEXT) | instid1(VALU_DEP_2)
	v_add_f64 v[181:182], v[62:63], -v[78:79]
	v_fma_f64 v[76:77], v[2:3], v[8:9], v[0:1]
	global_load_b128 v[8:11], v[4:5], off offset:112
	ds_load_b128 v[0:3], v32 offset:46080
	v_add_f64 v[185:186], v[60:61], -v[76:77]
	;; [unrolled: 11-line block ×3, first 2 shown]
	s_waitcnt vmcnt(0) lgkmcnt(0)
	v_mul_f64 v[4:5], v[2:3], v[8:9]
	scratch_store_b128 off, v[6:9], off offset:616 ; 16-byte Folded Spill
	v_fma_f64 v[94:95], v[0:1], v[6:7], -v[4:5]
	v_mul_f64 v[0:1], v[0:1], v[8:9]
	s_delay_alu instid0(VALU_DEP_2) | instskip(NEXT) | instid1(VALU_DEP_2)
	v_add_f64 v[179:180], v[42:43], -v[94:95]
	v_fma_f64 v[92:93], v[2:3], v[6:7], v[0:1]
	v_mul_lo_u16 v0, 0xcd, v152
	s_delay_alu instid0(VALU_DEP_1) | instskip(NEXT) | instid1(VALU_DEP_1)
	v_lshrrev_b16 v166, 11, v0
	v_mul_lo_u16 v0, v166, 10
	s_delay_alu instid0(VALU_DEP_1) | instskip(NEXT) | instid1(VALU_DEP_1)
	v_sub_nc_u16 v0, v151, v0
	v_and_b32_e32 v153, 0xff, v0
	ds_load_b128 v[0:3], v32 offset:7680
	v_mad_u64_u32 v[4:5], null, 0x90, v153, s[10:11]
	global_load_b128 v[8:11], v[4:5], off
	v_add_f64 v[183:184], v[40:41], -v[92:93]
	s_waitcnt vmcnt(0) lgkmcnt(0)
	v_mul_f64 v[6:7], v[2:3], v[10:11]
	scratch_store_b128 off, v[8:11], off offset:632 ; 16-byte Folded Spill
	v_fma_f64 v[16:17], v[0:1], v[8:9], -v[6:7]
	v_mul_f64 v[0:1], v[0:1], v[10:11]
	s_delay_alu instid0(VALU_DEP_1)
	v_fma_f64 v[18:19], v[2:3], v[8:9], v[0:1]
	global_load_b128 v[8:11], v[4:5], off offset:16
	ds_load_b128 v[0:3], v32 offset:13440
	s_waitcnt vmcnt(0) lgkmcnt(0)
	v_mul_f64 v[6:7], v[2:3], v[10:11]
	scratch_store_b128 off, v[8:11], off offset:648 ; 16-byte Folded Spill
	v_fma_f64 v[20:21], v[0:1], v[8:9], -v[6:7]
	v_mul_f64 v[0:1], v[0:1], v[10:11]
	s_delay_alu instid0(VALU_DEP_1)
	v_fma_f64 v[22:23], v[2:3], v[8:9], v[0:1]
	global_load_b128 v[8:11], v[4:5], off offset:32
	ds_load_b128 v[0:3], v32 offset:19200
	;; [unrolled: 9-line block ×8, first 2 shown]
	s_waitcnt vmcnt(0) lgkmcnt(0)
	v_mul_f64 v[4:5], v[2:3], v[8:9]
	scratch_store_b128 off, v[6:9], off offset:760 ; 16-byte Folded Spill
	v_fma_f64 v[106:107], v[0:1], v[6:7], -v[4:5]
	v_mul_f64 v[0:1], v[0:1], v[8:9]
	s_delay_alu instid0(VALU_DEP_1) | instskip(SKIP_1) | instid1(VALU_DEP_1)
	v_fma_f64 v[104:105], v[2:3], v[6:7], v[0:1]
	v_and_b32_e32 v0, 0xffff, v150
	v_mul_u32_u24_e32 v0, 0xcccd, v0
	s_delay_alu instid0(VALU_DEP_1) | instskip(NEXT) | instid1(VALU_DEP_1)
	v_lshrrev_b32_e32 v155, 19, v0
	v_mul_lo_u16 v0, v155, 10
	s_delay_alu instid0(VALU_DEP_1) | instskip(NEXT) | instid1(VALU_DEP_1)
	v_sub_nc_u16 v156, v150, v0
	v_mul_lo_u16 v0, 0x90, v156
	s_delay_alu instid0(VALU_DEP_1) | instskip(NEXT) | instid1(VALU_DEP_1)
	v_and_b32_e32 v0, 0xffff, v0
	v_add_co_u32 v4, s26, s10, v0
	s_delay_alu instid0(VALU_DEP_1)
	v_add_co_ci_u32_e64 v5, null, s11, 0, s26
	ds_load_b128 v[0:3], v32 offset:9600
	global_load_b128 v[8:11], v[4:5], off
	s_waitcnt vmcnt(0) lgkmcnt(0)
	v_mul_f64 v[6:7], v[2:3], v[10:11]
	scratch_store_b128 off, v[8:11], off offset:776 ; 16-byte Folded Spill
	v_fma_f64 v[148:149], v[0:1], v[8:9], -v[6:7]
	v_mul_f64 v[0:1], v[0:1], v[10:11]
	s_delay_alu instid0(VALU_DEP_1)
	v_fma_f64 v[34:35], v[2:3], v[8:9], v[0:1]
	global_load_b128 v[8:11], v[4:5], off offset:16
	ds_load_b128 v[0:3], v32 offset:15360
	s_waitcnt vmcnt(0) lgkmcnt(0)
	v_mul_f64 v[6:7], v[2:3], v[10:11]
	scratch_store_b128 off, v[8:11], off offset:792 ; 16-byte Folded Spill
	v_fma_f64 v[48:49], v[0:1], v[8:9], -v[6:7]
	v_mul_f64 v[0:1], v[0:1], v[10:11]
	s_delay_alu instid0(VALU_DEP_1)
	v_fma_f64 v[50:51], v[2:3], v[8:9], v[0:1]
	global_load_b128 v[8:11], v[4:5], off offset:32
	ds_load_b128 v[0:3], v32 offset:21120
	;; [unrolled: 9-line block ×3, first 2 shown]
	v_add_f64 v[14:15], v[34:35], v[52:53]
	s_waitcnt vmcnt(0) lgkmcnt(0)
	v_mul_f64 v[6:7], v[2:3], v[10:11]
	scratch_store_b128 off, v[8:11], off offset:824 ; 16-byte Folded Spill
	v_fma_f64 v[64:65], v[0:1], v[8:9], -v[6:7]
	v_mul_f64 v[0:1], v[0:1], v[10:11]
	s_delay_alu instid0(VALU_DEP_1)
	v_fma_f64 v[66:67], v[2:3], v[8:9], v[0:1]
	global_load_b128 v[8:11], v[4:5], off offset:64
	ds_load_b128 v[0:3], v32 offset:32640
	s_waitcnt vmcnt(0) lgkmcnt(0)
	v_mul_f64 v[6:7], v[2:3], v[10:11]
	scratch_store_b128 off, v[8:11], off offset:840 ; 16-byte Folded Spill
	v_fma_f64 v[102:103], v[0:1], v[8:9], -v[6:7]
	v_mul_f64 v[0:1], v[0:1], v[10:11]
	s_delay_alu instid0(VALU_DEP_1)
	v_fma_f64 v[100:101], v[2:3], v[8:9], v[0:1]
	global_load_b128 v[8:11], v[4:5], off offset:80
	ds_load_b128 v[0:3], v32 offset:38400
	v_add_f64 v[14:15], v[14:15], v[100:101]
	s_waitcnt vmcnt(0) lgkmcnt(0)
	v_mul_f64 v[6:7], v[2:3], v[10:11]
	scratch_store_b128 off, v[8:11], off offset:856 ; 16-byte Folded Spill
	v_fma_f64 v[108:109], v[0:1], v[8:9], -v[6:7]
	v_mul_f64 v[0:1], v[0:1], v[10:11]
	s_delay_alu instid0(VALU_DEP_2) | instskip(NEXT) | instid1(VALU_DEP_2)
	v_add_f64 v[12:13], v[64:65], v[108:109]
	v_fma_f64 v[110:111], v[2:3], v[8:9], v[0:1]
	global_load_b128 v[8:11], v[4:5], off offset:96
	ds_load_b128 v[0:3], v32 offset:44160
	s_waitcnt vmcnt(0) lgkmcnt(0)
	v_mul_f64 v[6:7], v[2:3], v[10:11]
	scratch_store_b128 off, v[8:11], off offset:872 ; 16-byte Folded Spill
	v_fma_f64 v[114:115], v[0:1], v[8:9], -v[6:7]
	v_mul_f64 v[0:1], v[0:1], v[10:11]
	s_delay_alu instid0(VALU_DEP_1)
	v_fma_f64 v[112:113], v[2:3], v[8:9], v[0:1]
	global_load_b128 v[8:11], v[4:5], off offset:112
	ds_load_b128 v[0:3], v32 offset:49920
	v_add_f64 v[14:15], v[14:15], v[112:113]
	s_waitcnt vmcnt(0) lgkmcnt(0)
	v_mul_f64 v[6:7], v[2:3], v[10:11]
	scratch_store_b128 off, v[8:11], off offset:888 ; 16-byte Folded Spill
	v_fma_f64 v[116:117], v[0:1], v[8:9], -v[6:7]
	v_mul_f64 v[0:1], v[0:1], v[10:11]
	s_delay_alu instid0(VALU_DEP_1)
	v_fma_f64 v[118:119], v[2:3], v[8:9], v[0:1]
	global_load_b128 v[6:9], v[4:5], off offset:128
	ds_load_b128 v[0:3], v32 offset:55680
	s_waitcnt vmcnt(0) lgkmcnt(0)
	v_mul_f64 v[4:5], v[2:3], v[8:9]
	scratch_store_b128 off, v[6:9], off offset:904 ; 16-byte Folded Spill
	v_fma_f64 v[122:123], v[0:1], v[6:7], -v[4:5]
	v_mul_f64 v[0:1], v[0:1], v[8:9]
	v_add_f64 v[4:5], v[56:57], v[72:73]
	s_delay_alu instid0(VALU_DEP_2)
	v_fma_f64 v[120:121], v[2:3], v[6:7], v[0:1]
	ds_load_b128 v[0:3], v32
	v_add_f64 v[6:7], v[30:31], v[40:41]
	s_waitcnt lgkmcnt(0)
	v_fma_f64 v[124:125], v[4:5], -0.5, v[0:1]
	v_add_f64 v[4:5], v[36:37], v[88:89]
	v_add_f64 v[14:15], v[14:15], v[120:121]
	s_delay_alu instid0(VALU_DEP_4) | instskip(NEXT) | instid1(VALU_DEP_3)
	v_add_f64 v[6:7], v[6:7], v[60:61]
	v_fma_f64 v[128:129], v[4:5], -0.5, v[0:1]
	v_add_f64 v[4:5], v[58:59], v[74:75]
	v_add_f64 v[0:1], v[0:1], v[36:37]
	s_delay_alu instid0(VALU_DEP_4) | instskip(NEXT) | instid1(VALU_DEP_3)
	v_add_f64 v[6:7], v[6:7], v[76:77]
	v_fma_f64 v[126:127], v[4:5], -0.5, v[2:3]
	v_add_f64 v[4:5], v[38:39], v[90:91]
	s_delay_alu instid0(VALU_DEP_4) | instskip(NEXT) | instid1(VALU_DEP_4)
	v_add_f64 v[0:1], v[0:1], v[56:57]
	v_add_f64 v[6:7], v[6:7], v[92:93]
	s_delay_alu instid0(VALU_DEP_3) | instskip(SKIP_3) | instid1(VALU_DEP_3)
	v_fma_f64 v[130:131], v[4:5], -0.5, v[2:3]
	v_add_f64 v[4:5], v[28:29], v[42:43]
	v_add_f64 v[2:3], v[2:3], v[38:39]
	;; [unrolled: 1-line block ×4, first 2 shown]
	s_delay_alu instid0(VALU_DEP_3) | instskip(NEXT) | instid1(VALU_DEP_3)
	v_add_f64 v[2:3], v[2:3], v[58:59]
	v_add_f64 v[0:1], v[0:1], v[88:89]
	s_delay_alu instid0(VALU_DEP_3) | instskip(NEXT) | instid1(VALU_DEP_3)
	v_add_f64 v[4:5], v[4:5], v[78:79]
	v_add_f64 v[2:3], v[2:3], v[74:75]
	s_delay_alu instid0(VALU_DEP_2) | instskip(NEXT) | instid1(VALU_DEP_2)
	v_add_f64 v[4:5], v[4:5], v[94:95]
	v_add_f64 v[2:3], v[2:3], v[90:91]
	s_delay_alu instid0(VALU_DEP_2) | instskip(SKIP_2) | instid1(VALU_DEP_4)
	v_add_f64 v[158:159], v[0:1], v[4:5]
	v_add_f64 v[162:163], v[0:1], -v[4:5]
	v_add_f64 v[4:5], v[44:45], v[80:81]
	v_add_f64 v[160:161], v[2:3], v[6:7]
	v_add_f64 v[164:165], v[2:3], -v[6:7]
	ds_load_b128 v[0:3], v32 offset:1920
	v_add_f64 v[6:7], v[18:19], v[24:25]
	s_waitcnt lgkmcnt(0)
	v_fma_f64 v[132:133], v[4:5], -0.5, v[0:1]
	v_add_f64 v[4:5], v[20:21], v[96:97]
	s_delay_alu instid0(VALU_DEP_3) | instskip(NEXT) | instid1(VALU_DEP_2)
	v_add_f64 v[6:7], v[6:7], v[68:69]
	v_fma_f64 v[136:137], v[4:5], -0.5, v[0:1]
	v_add_f64 v[4:5], v[46:47], v[82:83]
	v_add_f64 v[0:1], v[0:1], v[20:21]
	s_delay_alu instid0(VALU_DEP_4) | instskip(NEXT) | instid1(VALU_DEP_3)
	v_add_f64 v[6:7], v[6:7], v[84:85]
	v_fma_f64 v[134:135], v[4:5], -0.5, v[2:3]
	v_add_f64 v[4:5], v[22:23], v[98:99]
	s_delay_alu instid0(VALU_DEP_4) | instskip(NEXT) | instid1(VALU_DEP_4)
	v_add_f64 v[0:1], v[0:1], v[44:45]
	v_add_f64 v[6:7], v[6:7], v[104:105]
	s_delay_alu instid0(VALU_DEP_3) | instskip(SKIP_3) | instid1(VALU_DEP_3)
	v_fma_f64 v[138:139], v[4:5], -0.5, v[2:3]
	v_add_f64 v[2:3], v[2:3], v[22:23]
	v_add_f64 v[4:5], v[16:17], v[26:27]
	;; [unrolled: 1-line block ×4, first 2 shown]
	s_delay_alu instid0(VALU_DEP_3) | instskip(NEXT) | instid1(VALU_DEP_3)
	v_add_f64 v[4:5], v[4:5], v[70:71]
	v_add_f64 v[8:9], v[0:1], v[96:97]
	s_delay_alu instid0(VALU_DEP_3) | instskip(NEXT) | instid1(VALU_DEP_3)
	v_add_f64 v[2:3], v[2:3], v[82:83]
	v_add_f64 v[4:5], v[4:5], v[86:87]
	s_delay_alu instid0(VALU_DEP_2) | instskip(NEXT) | instid1(VALU_DEP_2)
	v_add_f64 v[10:11], v[2:3], v[98:99]
	v_add_f64 v[4:5], v[4:5], v[106:107]
	s_delay_alu instid0(VALU_DEP_2) | instskip(NEXT) | instid1(VALU_DEP_2)
	v_add_f64 v[2:3], v[10:11], v[6:7]
	v_add_f64 v[0:1], v[8:9], v[4:5]
	v_add_f64 v[4:5], v[8:9], -v[4:5]
	v_add_f64 v[6:7], v[10:11], -v[6:7]
	ds_load_b128 v[8:11], v32 offset:3840
	s_waitcnt lgkmcnt(0)
	s_waitcnt_vscnt null, 0x0
	s_barrier
	buffer_gl0_inv
	ds_store_b128 v212, v[158:161]
	ds_store_b128 v212, v[162:165] offset:800
	v_add_f64 v[157:158], v[36:37], -v[56:57]
	v_add_f64 v[159:160], v[88:89], -v[72:73]
	;; [unrolled: 1-line block ×5, first 2 shown]
	v_fma_f64 v[140:141], v[12:13], -0.5, v[8:9]
	v_add_f64 v[12:13], v[48:49], v[116:117]
	s_delay_alu instid0(VALU_DEP_4) | instskip(NEXT) | instid1(VALU_DEP_2)
	v_add_f64 v[56:57], v[36:37], v[56:57]
	v_fma_f64 v[144:145], v[12:13], -0.5, v[8:9]
	v_add_f64 v[12:13], v[66:67], v[110:111]
	v_add_f64 v[8:9], v[8:9], v[48:49]
	s_delay_alu instid0(VALU_DEP_2) | instskip(SKIP_1) | instid1(VALU_DEP_3)
	v_fma_f64 v[142:143], v[12:13], -0.5, v[10:11]
	v_add_f64 v[12:13], v[50:51], v[118:119]
	v_add_f64 v[8:9], v[8:9], v[64:65]
	s_delay_alu instid0(VALU_DEP_2) | instskip(SKIP_2) | instid1(VALU_DEP_4)
	v_fma_f64 v[146:147], v[12:13], -0.5, v[10:11]
	v_add_f64 v[12:13], v[148:149], v[54:55]
	v_add_f64 v[10:11], v[10:11], v[50:51]
	;; [unrolled: 1-line block ×3, first 2 shown]
	s_delay_alu instid0(VALU_DEP_3) | instskip(NEXT) | instid1(VALU_DEP_3)
	v_add_f64 v[12:13], v[12:13], v[102:103]
	v_add_f64 v[10:11], v[10:11], v[66:67]
	s_delay_alu instid0(VALU_DEP_3) | instskip(NEXT) | instid1(VALU_DEP_3)
	v_add_f64 v[167:168], v[8:9], v[116:117]
	v_add_f64 v[12:13], v[12:13], v[114:115]
	s_delay_alu instid0(VALU_DEP_3) | instskip(NEXT) | instid1(VALU_DEP_2)
	v_add_f64 v[10:11], v[10:11], v[110:111]
	v_add_f64 v[12:13], v[12:13], v[122:123]
	s_delay_alu instid0(VALU_DEP_2) | instskip(NEXT) | instid1(VALU_DEP_2)
	v_add_f64 v[169:170], v[10:11], v[118:119]
	v_add_f64 v[8:9], v[167:168], v[12:13]
	v_add_f64 v[12:13], v[167:168], -v[12:13]
	v_add_f64 v[167:168], v[157:158], v[159:160]
	v_add_f64 v[157:158], v[38:39], -v[58:59]
	v_add_f64 v[159:160], v[90:91], -v[74:75]
	v_add_f64 v[10:11], v[169:170], v[14:15]
	v_add_f64 v[14:15], v[169:170], -v[14:15]
	v_add_f64 v[38:39], v[58:59], -v[38:39]
	;; [unrolled: 1-line block ×4, first 2 shown]
	v_add_f64 v[169:170], v[157:158], v[159:160]
	v_add_f64 v[157:158], v[42:43], -v[62:63]
	v_add_f64 v[159:160], v[94:95], -v[78:79]
	v_add_f64 v[58:59], v[38:39], v[58:59]
	s_delay_alu instid0(VALU_DEP_2) | instskip(SKIP_2) | instid1(VALU_DEP_1)
	v_add_f64 v[171:172], v[157:158], v[159:160]
	v_add_f64 v[157:158], v[40:41], -v[60:61]
	v_add_f64 v[159:160], v[92:93], -v[76:77]
	v_add_f64 v[173:174], v[157:158], v[159:160]
	v_add_f64 v[157:158], v[62:63], v[78:79]
	v_add_f64 v[62:63], v[62:63], -v[42:43]
	v_add_f64 v[42:43], v[42:43], v[94:95]
	s_delay_alu instid0(VALU_DEP_3)
	v_fma_f64 v[175:176], v[157:158], -0.5, v[28:29]
	v_add_f64 v[157:158], v[60:61], v[76:77]
	v_add_f64 v[60:61], v[60:61], -v[40:41]
	v_add_f64 v[40:41], v[40:41], v[92:93]
	v_fma_f64 v[42:43], v[42:43], -0.5, v[28:29]
	v_add_f64 v[62:63], v[62:63], v[72:73]
	v_fma_f64 v[159:160], v[183:184], s[14:15], v[175:176]
	v_fma_f64 v[177:178], v[157:158], -0.5, v[30:31]
	v_add_f64 v[60:61], v[60:61], v[74:75]
	v_fma_f64 v[40:41], v[40:41], -0.5, v[30:31]
	v_fma_f64 v[30:31], v[185:186], s[16:17], v[42:43]
	v_fma_f64 v[42:43], v[185:186], s[14:15], v[42:43]
	;; [unrolled: 1-line block ×16, first 2 shown]
	s_delay_alu instid0(VALU_DEP_3) | instskip(SKIP_1) | instid1(VALU_DEP_4)
	v_fma_f64 v[40:41], v[60:61], s[12:13], v[40:41]
	v_mul_f64 v[60:61], v[42:43], s[18:19]
	v_mul_f64 v[161:162], v[157:158], s[2:3]
	s_delay_alu instid0(VALU_DEP_4) | instskip(NEXT) | instid1(VALU_DEP_3)
	v_mul_f64 v[36:37], v[28:29], s[14:15]
	v_fma_f64 v[60:61], v[40:41], s[14:15], v[60:61]
	v_mul_f64 v[40:41], v[40:41], s[18:19]
	s_delay_alu instid0(VALU_DEP_4) | instskip(SKIP_4) | instid1(VALU_DEP_4)
	v_fma_f64 v[161:162], v[159:160], s[22:23], v[161:162]
	v_mul_f64 v[159:160], v[159:160], s[8:9]
	v_fma_f64 v[36:37], v[30:31], s[12:13], v[36:37]
	v_mul_f64 v[30:31], v[30:31], s[16:17]
	v_fma_f64 v[62:63], v[42:43], s[16:17], v[40:41]
	v_fma_f64 v[163:164], v[157:158], s[22:23], v[159:160]
	;; [unrolled: 1-line block ×3, first 2 shown]
	s_delay_alu instid0(VALU_DEP_4) | instskip(SKIP_4) | instid1(VALU_DEP_4)
	v_fma_f64 v[38:39], v[28:29], s[12:13], v[30:31]
	v_fma_f64 v[28:29], v[189:190], s[16:17], v[128:129]
	;; [unrolled: 1-line block ×6, first 2 shown]
	s_delay_alu instid0(VALU_DEP_4) | instskip(NEXT) | instid1(VALU_DEP_4)
	v_fma_f64 v[30:31], v[191:192], s[8:9], v[30:31]
	v_fma_f64 v[159:160], v[193:194], s[8:9], v[159:160]
	s_delay_alu instid0(VALU_DEP_4) | instskip(NEXT) | instid1(VALU_DEP_4)
	v_fma_f64 v[195:196], v[167:168], s[12:13], v[157:158]
	v_fma_f64 v[72:73], v[56:57], s[12:13], v[28:29]
	;; [unrolled: 3-line block ×3, first 2 shown]
	s_delay_alu instid0(VALU_DEP_4)
	v_add_f64 v[157:158], v[195:196], v[161:162]
	v_add_f64 v[161:162], v[195:196], -v[161:162]
	v_add_f64 v[28:29], v[72:73], v[36:37]
	v_add_f64 v[36:37], v[72:73], -v[36:37]
	v_fma_f64 v[72:73], v[189:190], s[14:15], v[128:129]
	v_add_f64 v[30:31], v[74:75], v[38:39]
	v_add_f64 v[38:39], v[74:75], -v[38:39]
	v_fma_f64 v[74:75], v[179:180], s[14:15], v[177:178]
	v_add_f64 v[177:178], v[46:47], -v[82:83]
	v_add_f64 v[179:180], v[20:21], -v[96:97]
	v_add_f64 v[159:160], v[197:198], v[163:164]
	v_add_f64 v[163:164], v[197:198], -v[163:164]
	v_fma_f64 v[72:73], v[187:188], s[8:9], v[72:73]
	v_fma_f64 v[74:75], v[181:182], s[2:3], v[74:75]
	v_add_f64 v[181:182], v[44:45], -v[80:81]
	s_delay_alu instid0(VALU_DEP_3) | instskip(SKIP_1) | instid1(VALU_DEP_2)
	v_fma_f64 v[56:57], v[56:57], s[12:13], v[72:73]
	v_fma_f64 v[72:73], v[193:194], s[16:17], v[130:131]
	v_add_f64 v[40:41], v[56:57], v[60:61]
	s_delay_alu instid0(VALU_DEP_2) | instskip(SKIP_3) | instid1(VALU_DEP_4)
	v_fma_f64 v[72:73], v[191:192], s[2:3], v[72:73]
	v_add_f64 v[56:57], v[56:57], -v[60:61]
	v_fma_f64 v[60:61], v[183:184], s[16:17], v[175:176]
	v_add_f64 v[175:176], v[22:23], -v[98:99]
	v_fma_f64 v[58:59], v[58:59], s[12:13], v[72:73]
	v_fma_f64 v[72:73], v[191:192], s[14:15], v[126:127]
	s_delay_alu instid0(VALU_DEP_4) | instskip(NEXT) | instid1(VALU_DEP_3)
	v_fma_f64 v[60:61], v[185:186], s[8:9], v[60:61]
	v_add_f64 v[42:43], v[58:59], v[62:63]
	v_add_f64 v[58:59], v[58:59], -v[62:63]
	v_fma_f64 v[62:63], v[187:188], s[16:17], v[124:125]
	v_fma_f64 v[72:73], v[193:194], s[2:3], v[72:73]
	;; [unrolled: 1-line block ×3, first 2 shown]
	v_add_f64 v[171:172], v[24:25], -v[104:105]
	s_delay_alu instid0(VALU_DEP_4) | instskip(NEXT) | instid1(VALU_DEP_4)
	v_fma_f64 v[62:63], v[189:190], s[8:9], v[62:63]
	v_fma_f64 v[78:79], v[169:170], s[12:13], v[72:73]
	s_delay_alu instid0(VALU_DEP_4) | instskip(SKIP_1) | instid1(VALU_DEP_4)
	v_mul_f64 v[72:73], v[60:61], s[20:21]
	v_add_f64 v[169:170], v[70:71], -v[86:87]
	v_fma_f64 v[76:77], v[167:168], s[12:13], v[62:63]
	v_fma_f64 v[62:63], v[173:174], s[12:13], v[74:75]
	v_add_f64 v[173:174], v[68:69], -v[84:85]
	v_add_f64 v[167:168], v[26:27], -v[106:107]
	s_delay_alu instid0(VALU_DEP_3) | instskip(SKIP_1) | instid1(VALU_DEP_1)
	v_fma_f64 v[72:73], v[62:63], s[2:3], v[72:73]
	v_mul_f64 v[62:63], v[62:63], s[20:21]
	v_fma_f64 v[74:75], v[60:61], s[8:9], v[62:63]
	s_delay_alu instid0(VALU_DEP_3)
	v_add_f64 v[60:61], v[76:77], v[72:73]
	v_add_f64 v[72:73], v[76:77], -v[72:73]
	v_add_f64 v[76:77], v[20:21], -v[44:45]
	;; [unrolled: 1-line block ×4, first 2 shown]
	v_add_f64 v[62:63], v[78:79], v[74:75]
	v_add_f64 v[74:75], v[78:79], -v[74:75]
	v_add_f64 v[78:79], v[96:97], -v[80:81]
	v_add_f64 v[80:81], v[86:87], -v[106:107]
	ds_store_b128 v212, v[157:160] offset:160
	ds_store_b128 v212, v[28:31] offset:320
	;; [unrolled: 1-line block ×8, first 2 shown]
	v_add_f64 v[44:45], v[20:21], v[44:45]
	v_and_b32_e32 v28, 0xffff, v166
	v_add_f64 v[92:93], v[76:77], v[78:79]
	v_add_f64 v[76:77], v[22:23], -v[46:47]
	v_add_f64 v[78:79], v[98:99], -v[82:83]
	;; [unrolled: 1-line block ×5, first 2 shown]
	v_mul_u32_u24_e32 v28, 0x64, v28
	s_delay_alu instid0(VALU_DEP_1) | instskip(SKIP_4) | instid1(VALU_DEP_2)
	v_add_lshl_u32 v232, v28, v153, 4
	v_add_f64 v[94:95], v[76:77], v[78:79]
	v_add_f64 v[76:77], v[26:27], -v[70:71]
	v_add_f64 v[78:79], v[106:107], -v[86:87]
	v_add_f64 v[46:47], v[22:23], v[46:47]
	v_add_f64 v[124:125], v[76:77], v[78:79]
	v_add_f64 v[76:77], v[24:25], -v[68:69]
	v_add_f64 v[78:79], v[104:105], -v[84:85]
	s_delay_alu instid0(VALU_DEP_1) | instskip(SKIP_3) | instid1(VALU_DEP_3)
	v_add_f64 v[126:127], v[76:77], v[78:79]
	v_add_f64 v[76:77], v[70:71], v[86:87]
	v_add_f64 v[70:71], v[70:71], -v[26:27]
	v_add_f64 v[26:27], v[26:27], v[106:107]
	v_fma_f64 v[128:129], v[76:77], -0.5, v[16:17]
	v_add_f64 v[76:77], v[68:69], v[84:85]
	v_add_f64 v[68:69], v[68:69], -v[24:25]
	v_add_f64 v[24:25], v[24:25], v[104:105]
	v_fma_f64 v[26:27], v[26:27], -0.5, v[16:17]
	v_add_f64 v[70:71], v[70:71], v[80:81]
	v_fma_f64 v[78:79], v[171:172], s[14:15], v[128:129]
	v_fma_f64 v[130:131], v[76:77], -0.5, v[18:19]
	v_add_f64 v[68:69], v[68:69], v[82:83]
	v_fma_f64 v[24:25], v[24:25], -0.5, v[18:19]
	v_fma_f64 v[18:19], v[173:174], s[16:17], v[26:27]
	v_fma_f64 v[26:27], v[173:174], s[14:15], v[26:27]
	;; [unrolled: 1-line block ×16, first 2 shown]
	s_delay_alu instid0(VALU_DEP_3) | instskip(SKIP_1) | instid1(VALU_DEP_4)
	v_fma_f64 v[24:25], v[68:69], s[12:13], v[24:25]
	v_mul_f64 v[68:69], v[26:27], s[18:19]
	v_mul_f64 v[88:89], v[76:77], s[2:3]
	s_delay_alu instid0(VALU_DEP_4) | instskip(NEXT) | instid1(VALU_DEP_3)
	v_mul_f64 v[20:21], v[16:17], s[14:15]
	v_fma_f64 v[68:69], v[24:25], s[14:15], v[68:69]
	v_mul_f64 v[24:25], v[24:25], s[18:19]
	s_delay_alu instid0(VALU_DEP_4) | instskip(SKIP_4) | instid1(VALU_DEP_4)
	v_fma_f64 v[88:89], v[78:79], s[22:23], v[88:89]
	v_mul_f64 v[78:79], v[78:79], s[8:9]
	v_fma_f64 v[20:21], v[18:19], s[12:13], v[20:21]
	v_mul_f64 v[18:19], v[18:19], s[16:17]
	v_fma_f64 v[70:71], v[26:27], s[16:17], v[24:25]
	v_fma_f64 v[90:91], v[76:77], s[22:23], v[78:79]
	;; [unrolled: 1-line block ×3, first 2 shown]
	s_delay_alu instid0(VALU_DEP_4) | instskip(SKIP_4) | instid1(VALU_DEP_4)
	v_fma_f64 v[22:23], v[16:17], s[12:13], v[18:19]
	v_fma_f64 v[16:17], v[177:178], s[16:17], v[136:137]
	v_fma_f64 v[18:19], v[181:182], s[14:15], v[138:139]
	v_fma_f64 v[78:79], v[179:180], s[16:17], v[134:135]
	v_fma_f64 v[76:77], v[177:178], s[2:3], v[76:77]
	v_fma_f64 v[16:17], v[175:176], s[2:3], v[16:17]
	s_delay_alu instid0(VALU_DEP_4) | instskip(NEXT) | instid1(VALU_DEP_4)
	v_fma_f64 v[18:19], v[179:180], s[8:9], v[18:19]
	v_fma_f64 v[78:79], v[181:182], s[8:9], v[78:79]
	s_delay_alu instid0(VALU_DEP_4) | instskip(NEXT) | instid1(VALU_DEP_4)
	v_fma_f64 v[183:184], v[92:93], s[12:13], v[76:77]
	v_fma_f64 v[80:81], v[44:45], s[12:13], v[16:17]
	s_delay_alu instid0(VALU_DEP_4) | instskip(NEXT) | instid1(VALU_DEP_4)
	v_fma_f64 v[82:83], v[46:47], s[12:13], v[18:19]
	v_fma_f64 v[185:186], v[94:95], s[12:13], v[78:79]
	s_delay_alu instid0(VALU_DEP_4)
	v_add_f64 v[76:77], v[183:184], v[88:89]
	v_add_f64 v[88:89], v[183:184], -v[88:89]
	v_add_f64 v[16:17], v[80:81], v[20:21]
	v_add_f64 v[20:21], v[80:81], -v[20:21]
	v_fma_f64 v[80:81], v[177:178], s[14:15], v[136:137]
	v_add_f64 v[18:19], v[82:83], v[22:23]
	v_add_f64 v[22:23], v[82:83], -v[22:23]
	v_fma_f64 v[82:83], v[167:168], s[14:15], v[130:131]
	v_add_f64 v[136:137], v[52:53], -v[120:121]
	v_add_f64 v[167:168], v[50:51], -v[118:119]
	v_add_f64 v[78:79], v[185:186], v[90:91]
	v_add_f64 v[90:91], v[185:186], -v[90:91]
	v_fma_f64 v[80:81], v[175:176], s[8:9], v[80:81]
	v_fma_f64 v[82:83], v[169:170], s[2:3], v[82:83]
	v_add_f64 v[169:170], v[66:67], -v[110:111]
	s_delay_alu instid0(VALU_DEP_3) | instskip(SKIP_2) | instid1(VALU_DEP_3)
	v_fma_f64 v[44:45], v[44:45], s[12:13], v[80:81]
	v_fma_f64 v[80:81], v[181:182], s[16:17], v[138:139]
	v_add_f64 v[138:139], v[100:101], -v[112:113]
	v_add_f64 v[24:25], v[44:45], v[68:69]
	s_delay_alu instid0(VALU_DEP_3) | instskip(SKIP_3) | instid1(VALU_DEP_4)
	v_fma_f64 v[80:81], v[179:180], s[2:3], v[80:81]
	v_add_f64 v[44:45], v[44:45], -v[68:69]
	v_fma_f64 v[68:69], v[171:172], s[16:17], v[128:129]
	v_add_f64 v[171:172], v[48:49], -v[116:117]
	v_fma_f64 v[46:47], v[46:47], s[12:13], v[80:81]
	v_fma_f64 v[80:81], v[179:180], s[14:15], v[134:135]
	s_delay_alu instid0(VALU_DEP_4)
	v_fma_f64 v[68:69], v[173:174], s[8:9], v[68:69]
	v_add_f64 v[134:135], v[102:103], -v[114:115]
	v_add_f64 v[173:174], v[64:65], -v[108:109]
	v_add_f64 v[26:27], v[46:47], v[70:71]
	v_add_f64 v[46:47], v[46:47], -v[70:71]
	v_fma_f64 v[70:71], v[175:176], s[16:17], v[132:133]
	v_fma_f64 v[80:81], v[181:182], s[2:3], v[80:81]
	;; [unrolled: 1-line block ×3, first 2 shown]
	v_add_f64 v[132:133], v[54:55], -v[122:123]
	s_delay_alu instid0(VALU_DEP_4) | instskip(NEXT) | instid1(VALU_DEP_4)
	v_fma_f64 v[70:71], v[177:178], s[8:9], v[70:71]
	v_fma_f64 v[86:87], v[94:95], s[12:13], v[80:81]
	s_delay_alu instid0(VALU_DEP_4) | instskip(NEXT) | instid1(VALU_DEP_3)
	v_mul_f64 v[80:81], v[68:69], s[20:21]
	v_fma_f64 v[84:85], v[92:93], s[12:13], v[70:71]
	v_fma_f64 v[70:71], v[126:127], s[12:13], v[82:83]
	s_delay_alu instid0(VALU_DEP_1) | instskip(SKIP_1) | instid1(VALU_DEP_1)
	v_fma_f64 v[80:81], v[70:71], s[2:3], v[80:81]
	v_mul_f64 v[70:71], v[70:71], s[20:21]
	v_fma_f64 v[82:83], v[68:69], s[8:9], v[70:71]
	s_delay_alu instid0(VALU_DEP_3)
	v_add_f64 v[68:69], v[84:85], v[80:81]
	v_add_f64 v[80:81], v[84:85], -v[80:81]
	v_add_f64 v[84:85], v[48:49], -v[64:65]
	;; [unrolled: 1-line block ×4, first 2 shown]
	v_add_f64 v[70:71], v[86:87], v[82:83]
	v_add_f64 v[82:83], v[86:87], -v[82:83]
	v_add_f64 v[86:87], v[116:117], -v[108:109]
	ds_store_b128 v232, v[0:3]
	ds_store_b128 v232, v[76:79] offset:160
	ds_store_b128 v232, v[16:19] offset:320
	;; [unrolled: 1-line block ×9, first 2 shown]
	v_add_f64 v[64:65], v[48:49], v[64:65]
	v_mad_u16 v0, 0x64, v155, v156
	v_add_f64 v[104:105], v[84:85], v[86:87]
	v_add_f64 v[84:85], v[50:51], -v[66:67]
	v_add_f64 v[86:87], v[118:119], -v[110:111]
	;; [unrolled: 1-line block ×4, first 2 shown]
	v_and_b32_e32 v0, 0xffff, v0
	s_delay_alu instid0(VALU_DEP_4) | instskip(SKIP_3) | instid1(VALU_DEP_2)
	v_add_f64 v[106:107], v[84:85], v[86:87]
	v_add_f64 v[84:85], v[54:55], -v[102:103]
	v_add_f64 v[86:87], v[122:123], -v[114:115]
	v_add_f64 v[66:67], v[50:51], v[66:67]
	v_add_f64 v[124:125], v[84:85], v[86:87]
	v_add_f64 v[84:85], v[52:53], -v[100:101]
	v_add_f64 v[86:87], v[120:121], -v[112:113]
	s_delay_alu instid0(VALU_DEP_1) | instskip(SKIP_1) | instid1(VALU_DEP_1)
	v_add_f64 v[126:127], v[84:85], v[86:87]
	v_add_f64 v[84:85], v[102:103], v[114:115]
	v_fma_f64 v[128:129], v[84:85], -0.5, v[148:149]
	v_add_f64 v[84:85], v[100:101], v[112:113]
	v_add_f64 v[100:101], v[100:101], -v[52:53]
	v_add_f64 v[52:53], v[52:53], v[120:121]
	s_delay_alu instid0(VALU_DEP_4) | instskip(NEXT) | instid1(VALU_DEP_4)
	v_fma_f64 v[86:87], v[136:137], s[14:15], v[128:129]
	v_fma_f64 v[130:131], v[84:85], -0.5, v[34:35]
	s_delay_alu instid0(VALU_DEP_3) | instskip(NEXT) | instid1(VALU_DEP_3)
	v_fma_f64 v[33:34], v[52:53], -0.5, v[34:35]
	v_fma_f64 v[86:87], v[138:139], s[2:3], v[86:87]
	s_delay_alu instid0(VALU_DEP_3) | instskip(NEXT) | instid1(VALU_DEP_3)
	v_fma_f64 v[84:85], v[132:133], s[16:17], v[130:131]
	v_fma_f64 v[48:49], v[134:135], s[14:15], v[33:34]
	;; [unrolled: 1-line block ×3, first 2 shown]
	s_delay_alu instid0(VALU_DEP_4) | instskip(NEXT) | instid1(VALU_DEP_4)
	v_fma_f64 v[86:87], v[124:125], s[12:13], v[86:87]
	v_fma_f64 v[84:85], v[134:135], s[8:9], v[84:85]
	s_delay_alu instid0(VALU_DEP_4) | instskip(NEXT) | instid1(VALU_DEP_4)
	v_fma_f64 v[48:49], v[132:133], s[8:9], v[48:49]
	v_fma_f64 v[33:34], v[132:133], s[2:3], v[33:34]
	s_delay_alu instid0(VALU_DEP_3) | instskip(NEXT) | instid1(VALU_DEP_1)
	v_fma_f64 v[84:85], v[126:127], s[12:13], v[84:85]
	v_mul_f64 v[92:93], v[84:85], s[2:3]
	s_delay_alu instid0(VALU_DEP_1) | instskip(SKIP_1) | instid1(VALU_DEP_1)
	v_fma_f64 v[92:93], v[86:87], s[22:23], v[92:93]
	v_mul_f64 v[86:87], v[86:87], s[8:9]
	v_fma_f64 v[94:95], v[84:85], s[22:23], v[86:87]
	v_fma_f64 v[84:85], v[167:168], s[14:15], v[140:141]
	;; [unrolled: 1-line block ×3, first 2 shown]
	s_delay_alu instid0(VALU_DEP_2) | instskip(NEXT) | instid1(VALU_DEP_2)
	v_fma_f64 v[84:85], v[169:170], s[2:3], v[84:85]
	v_fma_f64 v[86:87], v[173:174], s[8:9], v[86:87]
	s_delay_alu instid0(VALU_DEP_2) | instskip(NEXT) | instid1(VALU_DEP_2)
	v_fma_f64 v[96:97], v[104:105], s[12:13], v[84:85]
	v_fma_f64 v[98:99], v[106:107], s[12:13], v[86:87]
	s_delay_alu instid0(VALU_DEP_2)
	v_add_f64 v[84:85], v[96:97], v[92:93]
	v_add_f64 v[92:93], v[96:97], -v[92:93]
	v_add_f64 v[96:97], v[102:103], -v[54:55]
	v_add_f64 v[54:55], v[54:55], v[122:123]
	v_add_f64 v[86:87], v[98:99], v[94:95]
	v_add_f64 v[94:95], v[98:99], -v[94:95]
	v_add_f64 v[98:99], v[114:115], -v[122:123]
	;; [unrolled: 1-line block ×3, first 2 shown]
	v_fma_f64 v[108:109], v[54:55], -0.5, v[148:149]
	s_delay_alu instid0(VALU_DEP_3) | instskip(NEXT) | instid1(VALU_DEP_3)
	v_add_f64 v[96:97], v[96:97], v[98:99]
	v_add_f64 v[98:99], v[100:101], v[102:103]
	s_delay_alu instid0(VALU_DEP_3) | instskip(NEXT) | instid1(VALU_DEP_2)
	v_fma_f64 v[50:51], v[138:139], s[16:17], v[108:109]
	v_fma_f64 v[48:49], v[98:99], s[12:13], v[48:49]
	v_fma_f64 v[33:34], v[98:99], s[12:13], v[33:34]
	s_delay_alu instid0(VALU_DEP_3) | instskip(NEXT) | instid1(VALU_DEP_3)
	v_fma_f64 v[50:51], v[136:137], s[2:3], v[50:51]
	v_mul_f64 v[52:53], v[48:49], s[14:15]
	s_delay_alu instid0(VALU_DEP_2) | instskip(NEXT) | instid1(VALU_DEP_1)
	v_fma_f64 v[50:51], v[96:97], s[12:13], v[50:51]
	v_fma_f64 v[52:53], v[50:51], s[12:13], v[52:53]
	v_mul_f64 v[50:51], v[50:51], s[16:17]
	s_delay_alu instid0(VALU_DEP_1) | instskip(SKIP_2) | instid1(VALU_DEP_2)
	v_fma_f64 v[54:55], v[48:49], s[12:13], v[50:51]
	v_fma_f64 v[48:49], v[169:170], s[16:17], v[144:145]
	;; [unrolled: 1-line block ×4, first 2 shown]
	s_delay_alu instid0(VALU_DEP_2) | instskip(NEXT) | instid1(VALU_DEP_2)
	v_fma_f64 v[50:51], v[171:172], s[8:9], v[50:51]
	v_fma_f64 v[100:101], v[64:65], s[12:13], v[48:49]
	s_delay_alu instid0(VALU_DEP_2) | instskip(NEXT) | instid1(VALU_DEP_2)
	v_fma_f64 v[102:103], v[66:67], s[12:13], v[50:51]
	v_add_f64 v[48:49], v[100:101], v[52:53]
	v_add_f64 v[52:53], v[100:101], -v[52:53]
	v_fma_f64 v[100:101], v[169:170], s[14:15], v[144:145]
	s_delay_alu instid0(VALU_DEP_4) | instskip(SKIP_1) | instid1(VALU_DEP_3)
	v_add_f64 v[50:51], v[102:103], v[54:55]
	v_add_f64 v[54:55], v[102:103], -v[54:55]
	v_fma_f64 v[100:101], v[167:168], s[8:9], v[100:101]
	s_delay_alu instid0(VALU_DEP_1) | instskip(SKIP_1) | instid1(VALU_DEP_1)
	v_fma_f64 v[100:101], v[64:65], s[12:13], v[100:101]
	v_fma_f64 v[64:65], v[173:174], s[16:17], v[146:147]
	;; [unrolled: 1-line block ×3, first 2 shown]
	s_delay_alu instid0(VALU_DEP_1) | instskip(SKIP_2) | instid1(VALU_DEP_2)
	v_fma_f64 v[102:103], v[66:67], s[12:13], v[64:65]
	v_fma_f64 v[64:65], v[138:139], s[14:15], v[108:109]
	;; [unrolled: 1-line block ×4, first 2 shown]
	s_delay_alu instid0(VALU_DEP_2) | instskip(NEXT) | instid1(VALU_DEP_2)
	v_fma_f64 v[108:109], v[134:135], s[2:3], v[108:109]
	v_fma_f64 v[64:65], v[96:97], s[12:13], v[64:65]
	s_delay_alu instid0(VALU_DEP_1) | instskip(NEXT) | instid1(VALU_DEP_1)
	v_mul_f64 v[66:67], v[64:65], s[18:19]
	v_fma_f64 v[96:97], v[33:34], s[14:15], v[66:67]
	v_mul_f64 v[33:34], v[33:34], s[18:19]
	s_delay_alu instid0(VALU_DEP_1) | instskip(NEXT) | instid1(VALU_DEP_3)
	v_fma_f64 v[33:34], v[64:65], s[16:17], v[33:34]
	v_add_f64 v[64:65], v[100:101], v[96:97]
	v_add_f64 v[96:97], v[100:101], -v[96:97]
	v_fma_f64 v[100:101], v[167:168], s[16:17], v[140:141]
	s_delay_alu instid0(VALU_DEP_4) | instskip(SKIP_4) | instid1(VALU_DEP_3)
	v_add_f64 v[66:67], v[102:103], v[33:34]
	v_add_f64 v[98:99], v[102:103], -v[33:34]
	v_fma_f64 v[33:34], v[136:137], s[16:17], v[128:129]
	v_fma_f64 v[102:103], v[171:172], s[14:15], v[142:143]
	;; [unrolled: 1-line block ×4, first 2 shown]
	s_delay_alu instid0(VALU_DEP_3) | instskip(NEXT) | instid1(VALU_DEP_3)
	v_fma_f64 v[102:103], v[173:174], s[2:3], v[102:103]
	v_fma_f64 v[104:105], v[104:105], s[12:13], v[100:101]
	;; [unrolled: 1-line block ×3, first 2 shown]
	s_delay_alu instid0(VALU_DEP_4) | instskip(NEXT) | instid1(VALU_DEP_4)
	v_fma_f64 v[33:34], v[124:125], s[12:13], v[33:34]
	v_fma_f64 v[106:107], v[106:107], s[12:13], v[102:103]
	s_delay_alu instid0(VALU_DEP_2) | instskip(NEXT) | instid1(VALU_DEP_1)
	v_mul_f64 v[102:103], v[33:34], s[20:21]
	v_fma_f64 v[108:109], v[100:101], s[2:3], v[102:103]
	v_mul_f64 v[100:101], v[100:101], s[20:21]
	s_delay_alu instid0(VALU_DEP_1) | instskip(NEXT) | instid1(VALU_DEP_3)
	v_fma_f64 v[33:34], v[33:34], s[8:9], v[100:101]
	v_add_f64 v[100:101], v[104:105], v[108:109]
	v_add_f64 v[104:105], v[104:105], -v[108:109]
	s_delay_alu instid0(VALU_DEP_3)
	v_add_f64 v[102:103], v[106:107], v[33:34]
	v_add_f64 v[106:107], v[106:107], -v[33:34]
	v_lshlrev_b32_e32 v33, 4, v0
	v_add_nc_u32_e32 v0, 0xffffff9c, v213
	ds_store_b128 v33, v[8:11]
	ds_store_b128 v33, v[84:87] offset:160
	ds_store_b128 v33, v[48:51] offset:320
	;; [unrolled: 1-line block ×9, first 2 shown]
	v_cndmask_b32_e32 v106, v0, v213, vcc_lo
	scratch_store_b32 off, v154, off offset:1240 ; 4-byte Folded Spill
	s_waitcnt lgkmcnt(0)
	s_waitcnt_vscnt null, 0x0
	s_barrier
	buffer_gl0_inv
	v_mul_i32_i24_e32 v0, 0x50, v106
	v_mul_hi_i32_i24_e32 v1, 0x50, v106
	ds_load_b128 v[2:5], v32 offset:9600
	v_add_co_u32 v18, vcc_lo, s10, v0
	v_add_co_ci_u32_e32 v19, vcc_lo, s11, v1, vcc_lo
	v_cmp_lt_u16_e64 vcc_lo, 0x63, v239
	s_clause 0x3
	global_load_b128 v[6:9], v[18:19], off offset:1440
	global_load_b128 v[10:13], v[18:19], off offset:1456
	;; [unrolled: 1-line block ×4, first 2 shown]
	v_cndmask_b32_e64 v153, 0, 0x258, vcc_lo
	s_delay_alu instid0(VALU_DEP_1)
	v_add_lshl_u32 v106, v106, v153, 4
	s_waitcnt vmcnt(3) lgkmcnt(0)
	v_mul_f64 v[0:1], v[4:5], v[8:9]
	scratch_store_b128 off, v[6:9], off offset:920 ; 16-byte Folded Spill
	s_waitcnt vmcnt(2)
	scratch_store_b128 off, v[10:13], off offset:936 ; 16-byte Folded Spill
	s_waitcnt vmcnt(1)
	;; [unrolled: 2-line block ×3, first 2 shown]
	scratch_store_b128 off, v[24:27], off offset:984 ; 16-byte Folded Spill
	v_fma_f64 v[0:1], v[2:3], v[6:7], -v[0:1]
	v_mul_f64 v[2:3], v[2:3], v[8:9]
	s_delay_alu instid0(VALU_DEP_1) | instskip(SKIP_3) | instid1(VALU_DEP_1)
	v_fma_f64 v[2:3], v[4:5], v[6:7], v[2:3]
	ds_load_b128 v[6:9], v32 offset:19200
	s_waitcnt lgkmcnt(0)
	v_mul_f64 v[4:5], v[8:9], v[12:13]
	v_fma_f64 v[4:5], v[6:7], v[10:11], -v[4:5]
	v_mul_f64 v[6:7], v[6:7], v[12:13]
	ds_load_b128 v[12:15], v32 offset:28800
	v_fma_f64 v[6:7], v[8:9], v[10:11], v[6:7]
	s_waitcnt lgkmcnt(0)
	v_mul_f64 v[8:9], v[14:15], v[22:23]
	s_delay_alu instid0(VALU_DEP_1) | instskip(SKIP_1) | instid1(VALU_DEP_1)
	v_fma_f64 v[10:11], v[12:13], v[20:21], -v[8:9]
	v_mul_f64 v[8:9], v[12:13], v[22:23]
	v_fma_f64 v[8:9], v[14:15], v[20:21], v[8:9]
	global_load_b128 v[20:23], v[18:19], off offset:1488
	ds_load_b128 v[14:17], v32 offset:38400
	s_waitcnt vmcnt(0) lgkmcnt(0)
	v_mul_f64 v[12:13], v[16:17], v[22:23]
	scratch_store_b128 off, v[20:23], off offset:968 ; 16-byte Folded Spill
	v_fma_f64 v[12:13], v[14:15], v[20:21], -v[12:13]
	v_mul_f64 v[14:15], v[14:15], v[22:23]
	s_delay_alu instid0(VALU_DEP_2) | instskip(NEXT) | instid1(VALU_DEP_2)
	v_add_f64 v[110:111], v[4:5], v[12:13]
	v_fma_f64 v[14:15], v[16:17], v[20:21], v[14:15]
	ds_load_b128 v[16:19], v32 offset:48000
	s_waitcnt lgkmcnt(0)
	v_mul_f64 v[20:21], v[18:19], v[26:27]
	s_delay_alu instid0(VALU_DEP_1) | instskip(SKIP_1) | instid1(VALU_DEP_1)
	v_fma_f64 v[22:23], v[16:17], v[24:25], -v[20:21]
	v_mul_f64 v[16:17], v[16:17], v[26:27]
	v_fma_f64 v[18:19], v[18:19], v[24:25], v[16:17]
	v_mul_lo_u16 v16, v152, 41
	ds_load_b128 v[24:27], v32 offset:11520
	v_lshrrev_b16 v102, 12, v16
	s_delay_alu instid0(VALU_DEP_1) | instskip(NEXT) | instid1(VALU_DEP_1)
	v_mul_lo_u16 v16, 0x64, v102
	v_sub_nc_u16 v16, v151, v16
	s_delay_alu instid0(VALU_DEP_1) | instskip(NEXT) | instid1(VALU_DEP_1)
	v_and_b32_e32 v103, 0xff, v16
	v_mad_u64_u32 v[38:39], null, 0x50, v103, s[10:11]
	s_clause 0x2
	global_load_b128 v[28:31], v[38:39], off offset:1440
	global_load_b128 v[34:37], v[38:39], off offset:1456
	global_load_b128 v[40:43], v[38:39], off offset:1472
	s_waitcnt vmcnt(2) lgkmcnt(0)
	v_mul_f64 v[16:17], v[26:27], v[30:31]
	v_mul_f64 v[20:21], v[24:25], v[30:31]
	scratch_store_b128 off, v[28:31], off offset:1000 ; 16-byte Folded Spill
	s_waitcnt vmcnt(1)
	scratch_store_b128 off, v[34:37], off offset:1016 ; 16-byte Folded Spill
	s_waitcnt vmcnt(0)
	scratch_store_b128 off, v[40:43], off offset:1032 ; 16-byte Folded Spill
	v_fma_f64 v[16:17], v[24:25], v[28:29], -v[16:17]
	v_fma_f64 v[20:21], v[26:27], v[28:29], v[20:21]
	ds_load_b128 v[26:29], v32 offset:21120
	s_waitcnt lgkmcnt(0)
	v_mul_f64 v[24:25], v[28:29], v[36:37]
	s_delay_alu instid0(VALU_DEP_1) | instskip(SKIP_1) | instid1(VALU_DEP_1)
	v_fma_f64 v[24:25], v[26:27], v[34:35], -v[24:25]
	v_mul_f64 v[26:27], v[26:27], v[36:37]
	v_fma_f64 v[26:27], v[28:29], v[34:35], v[26:27]
	ds_load_b128 v[34:37], v32 offset:30720
	s_waitcnt lgkmcnt(0)
	v_mul_f64 v[28:29], v[36:37], v[42:43]
	s_delay_alu instid0(VALU_DEP_1)
	v_fma_f64 v[30:31], v[34:35], v[40:41], -v[28:29]
	v_mul_f64 v[28:29], v[34:35], v[42:43]
	global_load_b128 v[42:45], v[38:39], off offset:1488
	v_fma_f64 v[28:29], v[36:37], v[40:41], v[28:29]
	ds_load_b128 v[34:37], v32 offset:40320
	s_waitcnt vmcnt(0) lgkmcnt(0)
	v_mul_f64 v[40:41], v[36:37], v[44:45]
	scratch_store_b128 off, v[42:45], off offset:1048 ; 16-byte Folded Spill
	v_fma_f64 v[100:101], v[34:35], v[42:43], -v[40:41]
	v_mul_f64 v[34:35], v[34:35], v[44:45]
	global_load_b128 v[44:47], v[38:39], off offset:1504
	v_add_f64 v[125:126], v[24:25], v[100:101]
	v_fma_f64 v[34:35], v[36:37], v[42:43], v[34:35]
	ds_load_b128 v[40:43], v32 offset:49920
	s_waitcnt vmcnt(0) lgkmcnt(0)
	v_mul_f64 v[36:37], v[42:43], v[46:47]
	s_delay_alu instid0(VALU_DEP_1) | instskip(SKIP_2) | instid1(VALU_DEP_1)
	v_fma_f64 v[38:39], v[40:41], v[44:45], -v[36:37]
	v_mul_f64 v[36:37], v[40:41], v[46:47]
	v_lshrrev_b16 v40, 2, v150
	v_and_b32_e32 v40, 0xffff, v40
	s_delay_alu instid0(VALU_DEP_1) | instskip(NEXT) | instid1(VALU_DEP_1)
	v_mul_u32_u24_e32 v40, 0x147b, v40
	v_lshrrev_b32_e32 v104, 17, v40
	s_delay_alu instid0(VALU_DEP_1) | instskip(NEXT) | instid1(VALU_DEP_1)
	v_mul_lo_u16 v40, 0x64, v104
	v_sub_nc_u16 v105, v150, v40
	s_delay_alu instid0(VALU_DEP_1) | instskip(NEXT) | instid1(VALU_DEP_1)
	v_mul_lo_u16 v40, 0x50, v105
	v_and_b32_e32 v40, 0xffff, v40
	v_fma_f64 v[36:37], v[42:43], v[44:45], v[36:37]
	s_delay_alu instid0(VALU_DEP_2) | instskip(NEXT) | instid1(VALU_DEP_1)
	v_add_co_u32 v58, s26, s10, v40
	v_add_co_ci_u32_e64 v59, null, s11, 0, s26
	global_load_b128 v[50:53], v[58:59], off offset:1456
	scratch_store_b128 off, v[44:47], off offset:1064 ; 16-byte Folded Spill
	s_clause 0x2
	global_load_b128 v[46:49], v[58:59], off offset:1440
	global_load_b128 v[60:63], v[58:59], off offset:1472
	;; [unrolled: 1-line block ×3, first 2 shown]
	ds_load_b128 v[42:45], v32 offset:13440
	s_waitcnt vmcnt(3)
	scratch_store_b128 off, v[50:53], off offset:1096 ; 16-byte Folded Spill
	s_waitcnt vmcnt(2) lgkmcnt(0)
	v_mul_f64 v[40:41], v[44:45], v[48:49]
	scratch_store_b128 off, v[46:49], off offset:1080 ; 16-byte Folded Spill
	s_waitcnt vmcnt(1)
	scratch_store_b128 off, v[60:63], off offset:1112 ; 16-byte Folded Spill
	s_waitcnt vmcnt(0)
	scratch_store_b128 off, v[64:67], off offset:1144 ; 16-byte Folded Spill
	v_fma_f64 v[40:41], v[42:43], v[46:47], -v[40:41]
	v_mul_f64 v[42:43], v[42:43], v[48:49]
	s_delay_alu instid0(VALU_DEP_1) | instskip(SKIP_3) | instid1(VALU_DEP_1)
	v_fma_f64 v[42:43], v[44:45], v[46:47], v[42:43]
	ds_load_b128 v[46:49], v32 offset:23040
	s_waitcnt lgkmcnt(0)
	v_mul_f64 v[44:45], v[48:49], v[52:53]
	v_fma_f64 v[44:45], v[46:47], v[50:51], -v[44:45]
	v_mul_f64 v[46:47], v[46:47], v[52:53]
	ds_load_b128 v[52:55], v32 offset:32640
	v_fma_f64 v[46:47], v[48:49], v[50:51], v[46:47]
	s_waitcnt lgkmcnt(0)
	v_mul_f64 v[48:49], v[54:55], v[62:63]
	s_delay_alu instid0(VALU_DEP_1) | instskip(SKIP_1) | instid1(VALU_DEP_1)
	v_fma_f64 v[50:51], v[52:53], v[60:61], -v[48:49]
	v_mul_f64 v[48:49], v[52:53], v[62:63]
	v_fma_f64 v[48:49], v[54:55], v[60:61], v[48:49]
	global_load_b128 v[60:63], v[58:59], off offset:1488
	ds_load_b128 v[54:57], v32 offset:42240
	s_waitcnt vmcnt(0) lgkmcnt(0)
	v_mul_f64 v[52:53], v[56:57], v[62:63]
	scratch_store_b128 off, v[60:63], off offset:1128 ; 16-byte Folded Spill
	v_fma_f64 v[52:53], v[54:55], v[60:61], -v[52:53]
	v_mul_f64 v[54:55], v[54:55], v[62:63]
	s_delay_alu instid0(VALU_DEP_2) | instskip(NEXT) | instid1(VALU_DEP_2)
	v_add_f64 v[133:134], v[44:45], v[52:53]
	v_fma_f64 v[54:55], v[56:57], v[60:61], v[54:55]
	ds_load_b128 v[60:63], v32 offset:51840
	s_waitcnt lgkmcnt(0)
	v_mul_f64 v[56:57], v[62:63], v[66:67]
	s_delay_alu instid0(VALU_DEP_1) | instskip(SKIP_2) | instid1(VALU_DEP_1)
	v_fma_f64 v[58:59], v[60:61], v[64:65], -v[56:57]
	v_mul_f64 v[56:57], v[60:61], v[66:67]
	v_add_nc_u16 v60, v239, 0x168
	v_lshrrev_b16 v61, 2, v60
	s_delay_alu instid0(VALU_DEP_1) | instskip(NEXT) | instid1(VALU_DEP_1)
	v_and_b32_e32 v61, 0xffff, v61
	v_mul_u32_u24_e32 v61, 0x147b, v61
	s_delay_alu instid0(VALU_DEP_1) | instskip(NEXT) | instid1(VALU_DEP_1)
	v_lshrrev_b32_e32 v107, 17, v61
	v_mul_lo_u16 v61, 0x64, v107
	s_delay_alu instid0(VALU_DEP_1) | instskip(NEXT) | instid1(VALU_DEP_1)
	v_sub_nc_u16 v108, v60, v61
	v_mul_lo_u16 v60, 0x50, v108
	v_fma_f64 v[56:57], v[62:63], v[64:65], v[56:57]
	ds_load_b128 v[62:65], v32 offset:15360
	v_and_b32_e32 v60, 0xffff, v60
	s_delay_alu instid0(VALU_DEP_1) | instskip(NEXT) | instid1(VALU_DEP_1)
	v_add_co_u32 v78, s26, s10, v60
	v_add_co_ci_u32_e64 v79, null, s11, 0, s26
	s_clause 0x3
	global_load_b128 v[66:69], v[78:79], off offset:1440
	global_load_b128 v[70:73], v[78:79], off offset:1456
	;; [unrolled: 1-line block ×4, first 2 shown]
	s_waitcnt vmcnt(3) lgkmcnt(0)
	v_mul_f64 v[60:61], v[64:65], v[68:69]
	scratch_store_b128 off, v[66:69], off offset:1160 ; 16-byte Folded Spill
	s_waitcnt vmcnt(2)
	scratch_store_b128 off, v[70:73], off offset:1176 ; 16-byte Folded Spill
	s_waitcnt vmcnt(1)
	scratch_store_b128 off, v[80:83], off offset:1192 ; 16-byte Folded Spill
	v_fma_f64 v[60:61], v[62:63], v[66:67], -v[60:61]
	v_mul_f64 v[62:63], v[62:63], v[68:69]
	s_delay_alu instid0(VALU_DEP_1) | instskip(SKIP_3) | instid1(VALU_DEP_1)
	v_fma_f64 v[62:63], v[64:65], v[66:67], v[62:63]
	ds_load_b128 v[66:69], v32 offset:24960
	s_waitcnt lgkmcnt(0)
	v_mul_f64 v[64:65], v[68:69], v[72:73]
	v_fma_f64 v[64:65], v[66:67], v[70:71], -v[64:65]
	v_mul_f64 v[66:67], v[66:67], v[72:73]
	ds_load_b128 v[72:75], v32 offset:34560
	v_fma_f64 v[66:67], v[68:69], v[70:71], v[66:67]
	s_waitcnt lgkmcnt(0)
	v_mul_f64 v[68:69], v[74:75], v[82:83]
	s_delay_alu instid0(VALU_DEP_1) | instskip(SKIP_1) | instid1(VALU_DEP_1)
	v_fma_f64 v[70:71], v[72:73], v[80:81], -v[68:69]
	v_mul_f64 v[68:69], v[72:73], v[82:83]
	v_fma_f64 v[68:69], v[74:75], v[80:81], v[68:69]
	global_load_b128 v[80:83], v[78:79], off offset:1488
	ds_load_b128 v[74:77], v32 offset:44160
	s_waitcnt vmcnt(0) lgkmcnt(0)
	v_mul_f64 v[72:73], v[76:77], v[82:83]
	scratch_store_b128 off, v[80:83], off offset:1208 ; 16-byte Folded Spill
	v_fma_f64 v[72:73], v[74:75], v[80:81], -v[72:73]
	v_mul_f64 v[74:75], v[74:75], v[82:83]
	s_delay_alu instid0(VALU_DEP_2) | instskip(NEXT) | instid1(VALU_DEP_2)
	v_add_f64 v[141:142], v[64:65], v[72:73]
	v_fma_f64 v[74:75], v[76:77], v[80:81], v[74:75]
	ds_load_b128 v[80:83], v32 offset:53760
	s_waitcnt lgkmcnt(0)
	v_mul_f64 v[76:77], v[82:83], v[86:87]
	s_delay_alu instid0(VALU_DEP_1) | instskip(SKIP_2) | instid1(VALU_DEP_1)
	v_fma_f64 v[78:79], v[80:81], v[84:85], -v[76:77]
	v_mul_f64 v[76:77], v[80:81], v[86:87]
	v_add_nc_u16 v80, v239, 0x1e0
	v_lshrrev_b16 v81, 2, v80
	s_delay_alu instid0(VALU_DEP_1) | instskip(NEXT) | instid1(VALU_DEP_1)
	v_and_b32_e32 v81, 0xffff, v81
	v_mul_u32_u24_e32 v81, 0x147b, v81
	s_delay_alu instid0(VALU_DEP_1) | instskip(NEXT) | instid1(VALU_DEP_1)
	v_lshrrev_b32_e32 v109, 17, v81
	v_mul_lo_u16 v81, 0x64, v109
	s_delay_alu instid0(VALU_DEP_1) | instskip(NEXT) | instid1(VALU_DEP_1)
	v_sub_nc_u16 v112, v80, v81
	v_mul_lo_u16 v80, 0x50, v112
	s_delay_alu instid0(VALU_DEP_1) | instskip(NEXT) | instid1(VALU_DEP_1)
	v_and_b32_e32 v80, 0xffff, v80
	v_add_co_u32 v98, s26, s10, v80
	s_delay_alu instid0(VALU_DEP_1)
	v_add_co_ci_u32_e64 v99, null, s11, 0, s26
	s_mov_b32 s26, 0xe8584caa
	s_mov_b32 s27, 0x3febb67a
	;; [unrolled: 1-line block ×3, first 2 shown]
	global_load_b128 v[90:93], v[98:99], off offset:1456
	scratch_store_b128 off, v[84:87], off offset:1224 ; 16-byte Folded Spill
	s_clause 0x2
	global_load_b128 v[86:89], v[98:99], off offset:1440
	global_load_b128 v[113:116], v[98:99], off offset:1472
	;; [unrolled: 1-line block ×3, first 2 shown]
	v_fma_f64 v[76:77], v[82:83], v[84:85], v[76:77]
	ds_load_b128 v[82:85], v32 offset:17280
	s_waitcnt vmcnt(3)
	scratch_store_b128 off, v[90:93], off offset:1260 ; 16-byte Folded Spill
	s_waitcnt vmcnt(2) lgkmcnt(0)
	v_mul_f64 v[80:81], v[84:85], v[88:89]
	scratch_store_b128 off, v[86:89], off offset:1244 ; 16-byte Folded Spill
	s_waitcnt vmcnt(1)
	scratch_store_b128 off, v[113:116], off offset:1276 ; 16-byte Folded Spill
	s_waitcnt vmcnt(0)
	scratch_store_b128 off, v[117:120], off offset:1316 ; 16-byte Folded Spill
	v_fma_f64 v[80:81], v[82:83], v[86:87], -v[80:81]
	v_mul_f64 v[82:83], v[82:83], v[88:89]
	s_delay_alu instid0(VALU_DEP_1) | instskip(SKIP_3) | instid1(VALU_DEP_1)
	v_fma_f64 v[82:83], v[84:85], v[86:87], v[82:83]
	ds_load_b128 v[86:89], v32 offset:26880
	s_waitcnt lgkmcnt(0)
	v_mul_f64 v[84:85], v[88:89], v[92:93]
	v_fma_f64 v[84:85], v[86:87], v[90:91], -v[84:85]
	v_mul_f64 v[86:87], v[86:87], v[92:93]
	ds_load_b128 v[92:95], v32 offset:36480
	v_fma_f64 v[86:87], v[88:89], v[90:91], v[86:87]
	s_waitcnt lgkmcnt(0)
	v_mul_f64 v[88:89], v[94:95], v[115:116]
	s_delay_alu instid0(VALU_DEP_1) | instskip(SKIP_1) | instid1(VALU_DEP_1)
	v_fma_f64 v[90:91], v[92:93], v[113:114], -v[88:89]
	v_mul_f64 v[88:89], v[92:93], v[115:116]
	v_fma_f64 v[88:89], v[94:95], v[113:114], v[88:89]
	global_load_b128 v[113:116], v[98:99], off offset:1488
	ds_load_b128 v[94:97], v32 offset:46080
	s_waitcnt vmcnt(0) lgkmcnt(0)
	v_mul_f64 v[92:93], v[96:97], v[115:116]
	scratch_store_b128 off, v[113:116], off offset:1292 ; 16-byte Folded Spill
	v_fma_f64 v[92:93], v[94:95], v[113:114], -v[92:93]
	v_mul_f64 v[94:95], v[94:95], v[115:116]
	s_delay_alu instid0(VALU_DEP_2) | instskip(NEXT) | instid1(VALU_DEP_2)
	v_add_f64 v[149:150], v[84:85], v[92:93]
	v_fma_f64 v[94:95], v[96:97], v[113:114], v[94:95]
	ds_load_b128 v[113:116], v32 offset:55680
	s_waitcnt lgkmcnt(0)
	v_mul_f64 v[96:97], v[115:116], v[119:120]
	s_delay_alu instid0(VALU_DEP_1) | instskip(SKIP_1) | instid1(VALU_DEP_1)
	v_fma_f64 v[98:99], v[113:114], v[117:118], -v[96:97]
	v_mul_f64 v[96:97], v[113:114], v[119:120]
	v_fma_f64 v[96:97], v[115:116], v[117:118], v[96:97]
	ds_load_b128 v[113:116], v32
	v_add_f64 v[117:118], v[6:7], v[14:15]
	s_waitcnt lgkmcnt(0)
	v_fma_f64 v[110:111], v[110:111], -0.5, v[113:114]
	v_add_f64 v[113:114], v[113:114], v[4:5]
	s_delay_alu instid0(VALU_DEP_3) | instskip(SKIP_1) | instid1(VALU_DEP_3)
	v_fma_f64 v[155:156], v[117:118], -0.5, v[115:116]
	v_add_f64 v[115:116], v[115:116], v[6:7]
	v_add_f64 v[117:118], v[113:114], v[12:13]
	;; [unrolled: 1-line block ×3, first 2 shown]
	v_add_f64 v[12:13], v[4:5], -v[12:13]
	s_delay_alu instid0(VALU_DEP_4) | instskip(SKIP_1) | instid1(VALU_DEP_4)
	v_add_f64 v[119:120], v[115:116], v[14:15]
	v_add_f64 v[14:15], v[6:7], -v[14:15]
	v_add_f64 v[121:122], v[113:114], v[22:23]
	v_add_f64 v[113:114], v[2:3], v[8:9]
	s_delay_alu instid0(VALU_DEP_1) | instskip(NEXT) | instid1(VALU_DEP_3)
	v_add_f64 v[123:124], v[113:114], v[18:19]
	v_add_f64 v[113:114], v[117:118], v[121:122]
	v_add_f64 v[117:118], v[117:118], -v[121:122]
	s_delay_alu instid0(VALU_DEP_3)
	v_add_f64 v[115:116], v[119:120], v[123:124]
	v_add_f64 v[119:120], v[119:120], -v[123:124]
	ds_load_b128 v[121:124], v32 offset:1920
	s_waitcnt lgkmcnt(0)
	v_fma_f64 v[157:158], v[125:126], -0.5, v[121:122]
	v_add_f64 v[125:126], v[26:27], v[34:35]
	v_add_f64 v[121:122], v[121:122], v[24:25]
	v_add_f64 v[24:25], v[24:25], -v[100:101]
	s_delay_alu instid0(VALU_DEP_3) | instskip(NEXT) | instid1(VALU_DEP_3)
	v_fma_f64 v[159:160], v[125:126], -0.5, v[123:124]
	v_add_f64 v[125:126], v[121:122], v[100:101]
	v_add_f64 v[121:122], v[16:17], v[30:31]
	;; [unrolled: 1-line block ×3, first 2 shown]
	v_add_f64 v[26:27], v[26:27], -v[34:35]
	v_fma_f64 v[100:101], v[24:25], s[28:29], v[159:160]
	s_delay_alu instid0(VALU_DEP_4) | instskip(SKIP_2) | instid1(VALU_DEP_2)
	v_add_f64 v[129:130], v[121:122], v[38:39]
	v_add_f64 v[121:122], v[20:21], v[28:29]
	;; [unrolled: 1-line block ×4, first 2 shown]
	s_delay_alu instid0(VALU_DEP_4) | instskip(SKIP_1) | instid1(VALU_DEP_3)
	v_add_f64 v[121:122], v[125:126], v[129:130]
	v_add_f64 v[125:126], v[125:126], -v[129:130]
	v_add_f64 v[123:124], v[127:128], v[131:132]
	v_add_f64 v[127:128], v[127:128], -v[131:132]
	ds_load_b128 v[129:132], v32 offset:3840
	s_waitcnt lgkmcnt(0)
	v_fma_f64 v[161:162], v[133:134], -0.5, v[129:130]
	v_add_f64 v[133:134], v[46:47], v[54:55]
	v_add_f64 v[129:130], v[129:130], v[44:45]
	v_add_f64 v[44:45], v[44:45], -v[52:53]
	s_delay_alu instid0(VALU_DEP_3) | instskip(NEXT) | instid1(VALU_DEP_3)
	v_fma_f64 v[163:164], v[133:134], -0.5, v[131:132]
	v_add_f64 v[133:134], v[129:130], v[52:53]
	v_add_f64 v[129:130], v[40:41], v[50:51]
	;; [unrolled: 1-line block ×3, first 2 shown]
	v_add_f64 v[46:47], v[46:47], -v[54:55]
	s_delay_alu instid0(VALU_DEP_3) | instskip(SKIP_1) | instid1(VALU_DEP_4)
	v_add_f64 v[137:138], v[129:130], v[58:59]
	v_add_f64 v[129:130], v[42:43], v[48:49]
	;; [unrolled: 1-line block ×3, first 2 shown]
	s_delay_alu instid0(VALU_DEP_4) | instskip(SKIP_1) | instid1(VALU_DEP_4)
	v_fma_f64 v[54:55], v[46:47], s[26:27], v[161:162]
	v_fma_f64 v[46:47], v[46:47], s[28:29], v[161:162]
	v_add_f64 v[139:140], v[129:130], v[56:57]
	v_add_f64 v[129:130], v[133:134], v[137:138]
	v_add_f64 v[133:134], v[133:134], -v[137:138]
	s_delay_alu instid0(VALU_DEP_3)
	v_add_f64 v[131:132], v[135:136], v[139:140]
	v_add_f64 v[135:136], v[135:136], -v[139:140]
	ds_load_b128 v[137:140], v32 offset:5760
	s_waitcnt lgkmcnt(0)
	v_fma_f64 v[165:166], v[141:142], -0.5, v[137:138]
	v_add_f64 v[141:142], v[66:67], v[74:75]
	v_add_f64 v[137:138], v[137:138], v[64:65]
	v_add_f64 v[64:65], v[64:65], -v[72:73]
	s_delay_alu instid0(VALU_DEP_3) | instskip(NEXT) | instid1(VALU_DEP_3)
	v_fma_f64 v[167:168], v[141:142], -0.5, v[139:140]
	v_add_f64 v[141:142], v[137:138], v[72:73]
	v_add_f64 v[137:138], v[60:61], v[70:71]
	;; [unrolled: 1-line block ×3, first 2 shown]
	v_add_f64 v[66:67], v[66:67], -v[74:75]
	v_fma_f64 v[72:73], v[64:65], s[28:29], v[167:168]
	v_fma_f64 v[64:65], v[64:65], s[26:27], v[167:168]
	v_add_f64 v[145:146], v[137:138], v[78:79]
	v_add_f64 v[137:138], v[62:63], v[68:69]
	;; [unrolled: 1-line block ×3, first 2 shown]
	v_add_f64 v[74:75], v[90:91], -v[98:99]
	s_delay_alu instid0(VALU_DEP_3) | instskip(SKIP_2) | instid1(VALU_DEP_3)
	v_add_f64 v[147:148], v[137:138], v[76:77]
	v_add_f64 v[137:138], v[141:142], v[145:146]
	v_add_f64 v[141:142], v[141:142], -v[145:146]
	v_add_f64 v[139:140], v[143:144], v[147:148]
	v_add_f64 v[143:144], v[143:144], -v[147:148]
	ds_load_b128 v[145:148], v32 offset:7680
	s_waitcnt lgkmcnt(0)
	s_waitcnt_vscnt null, 0x0
	s_barrier
	buffer_gl0_inv
	ds_store_b128 v106, v[113:116]
	ds_store_b128 v106, v[117:120] offset:4800
	v_add_f64 v[113:114], v[10:11], v[22:23]
	v_add_f64 v[10:11], v[10:11], -v[22:23]
	v_add_f64 v[22:23], v[8:9], v[18:19]
	v_add_f64 v[8:9], v[8:9], -v[18:19]
	v_fma_f64 v[115:116], v[12:13], s[28:29], v[155:156]
	scratch_store_b32 off, v106, off offset:1416 ; 4-byte Folded Spill
	v_fma_f64 v[169:170], v[149:150], -0.5, v[145:146]
	v_add_f64 v[149:150], v[86:87], v[94:95]
	v_add_f64 v[145:146], v[145:146], v[84:85]
	v_fma_f64 v[18:19], v[113:114], -0.5, v[0:1]
	v_fma_f64 v[113:114], v[14:15], s[26:27], v[110:111]
	v_fma_f64 v[22:23], v[22:23], -0.5, v[2:3]
	v_fma_f64 v[14:15], v[14:15], s[28:29], v[110:111]
	v_fma_f64 v[171:172], v[149:150], -0.5, v[147:148]
	v_add_f64 v[149:150], v[145:146], v[92:93]
	v_add_f64 v[145:146], v[80:81], v[90:91]
	;; [unrolled: 1-line block ×3, first 2 shown]
	v_fma_f64 v[2:3], v[8:9], s[26:27], v[18:19]
	v_fma_f64 v[8:9], v[8:9], s[28:29], v[18:19]
	;; [unrolled: 1-line block ×5, first 2 shown]
	v_add_f64 v[173:174], v[145:146], v[98:99]
	v_add_f64 v[145:146], v[82:83], v[88:89]
	;; [unrolled: 1-line block ×3, first 2 shown]
	v_mul_f64 v[12:13], v[8:9], -0.5
	v_mul_f64 v[4:5], v[0:1], s[26:27]
	s_delay_alu instid0(VALU_DEP_4)
	v_add_f64 v[175:176], v[145:146], v[96:97]
	v_add_f64 v[145:146], v[149:150], v[173:174]
	v_add_f64 v[149:150], v[149:150], -v[173:174]
	v_fma_f64 v[12:13], v[10:11], s[26:27], v[12:13]
	v_mul_f64 v[10:11], v[10:11], -0.5
	v_fma_f64 v[4:5], v[2:3], 0.5, v[4:5]
	v_mul_f64 v[2:3], v[2:3], s[28:29]
	v_add_f64 v[147:148], v[151:152], v[175:176]
	v_add_f64 v[151:152], v[151:152], -v[175:176]
	v_fma_f64 v[22:23], v[8:9], s[28:29], v[10:11]
	v_add_f64 v[8:9], v[14:15], v[12:13]
	v_add_f64 v[12:13], v[14:15], -v[12:13]
	v_fma_f64 v[6:7], v[0:1], 0.5, v[2:3]
	v_add_f64 v[0:1], v[113:114], v[4:5]
	v_add_f64 v[4:5], v[113:114], -v[4:5]
	v_add_f64 v[10:11], v[18:19], v[22:23]
	v_add_f64 v[14:15], v[18:19], -v[22:23]
	v_add_f64 v[22:23], v[28:29], v[36:37]
	v_add_f64 v[18:19], v[30:31], v[38:39]
	v_add_f64 v[30:31], v[30:31], -v[38:39]
	v_add_f64 v[28:29], v[28:29], -v[36:37]
	v_fma_f64 v[36:37], v[26:27], s[26:27], v[157:158]
	v_add_f64 v[2:3], v[115:116], v[6:7]
	v_add_f64 v[6:7], v[115:116], -v[6:7]
	ds_store_b128 v106, v[0:3] offset:1600
	ds_store_b128 v106, v[8:11] offset:3200
	;; [unrolled: 1-line block ×4, first 2 shown]
	v_fma_f64 v[38:39], v[22:23], -0.5, v[20:21]
	v_fma_f64 v[34:35], v[18:19], -0.5, v[16:17]
	v_and_b32_e32 v0, 0xffff, v102
	v_mad_u64_u32 v[8:9], null, 0x50, v154, s[10:11]
	s_delay_alu instid0(VALU_DEP_2) | instskip(NEXT) | instid1(VALU_DEP_2)
	v_mul_u32_u24_e32 v0, 0x258, v0
	v_add_co_u32 v4, vcc_lo, 0x2000, v8
	s_delay_alu instid0(VALU_DEP_2) | instskip(SKIP_2) | instid1(VALU_DEP_2)
	v_add_lshl_u32 v213, v0, v103, 4
	v_mad_u16 v0, 0x258, v104, v105
	v_add_co_ci_u32_e32 v5, vcc_lo, 0, v9, vcc_lo
	v_and_b32_e32 v0, 0xffff, v0
	s_delay_alu instid0(VALU_DEP_1) | instskip(SKIP_1) | instid1(VALU_DEP_1)
	v_lshlrev_b32_e32 v214, 4, v0
	v_mad_u16 v0, 0x258, v107, v108
	v_and_b32_e32 v0, 0xffff, v0
	s_delay_alu instid0(VALU_DEP_1) | instskip(SKIP_4) | instid1(VALU_DEP_4)
	v_lshlrev_b32_e32 v0, 4, v0
	v_fma_f64 v[16:17], v[30:31], s[28:29], v[38:39]
	v_fma_f64 v[18:19], v[28:29], s[26:27], v[34:35]
	;; [unrolled: 1-line block ×4, first 2 shown]
	v_mul_f64 v[20:21], v[16:17], s[26:27]
	s_delay_alu instid0(VALU_DEP_3) | instskip(NEXT) | instid1(VALU_DEP_2)
	v_mul_f64 v[26:27], v[28:29], -0.5
	v_fma_f64 v[20:21], v[18:19], 0.5, v[20:21]
	v_mul_f64 v[18:19], v[18:19], s[28:29]
	s_delay_alu instid0(VALU_DEP_1) | instskip(NEXT) | instid1(VALU_DEP_3)
	v_fma_f64 v[22:23], v[16:17], 0.5, v[18:19]
	v_add_f64 v[16:17], v[36:37], v[20:21]
	v_add_f64 v[20:21], v[36:37], -v[20:21]
	v_fma_f64 v[36:37], v[24:25], s[26:27], v[159:160]
	v_fma_f64 v[24:25], v[30:31], s[26:27], v[38:39]
	v_add_f64 v[18:19], v[100:101], v[22:23]
	v_add_f64 v[22:23], v[100:101], -v[22:23]
	s_delay_alu instid0(VALU_DEP_3) | instskip(SKIP_1) | instid1(VALU_DEP_1)
	v_fma_f64 v[30:31], v[24:25], s[26:27], v[26:27]
	v_mul_f64 v[24:25], v[24:25], -0.5
	v_fma_f64 v[38:39], v[28:29], s[28:29], v[24:25]
	s_delay_alu instid0(VALU_DEP_3)
	v_add_f64 v[24:25], v[34:35], v[30:31]
	v_add_f64 v[28:29], v[34:35], -v[30:31]
	v_add_f64 v[34:35], v[50:51], v[58:59]
	v_add_f64 v[50:51], v[50:51], -v[58:59]
	v_add_f64 v[58:59], v[70:71], -v[78:79]
	v_add_f64 v[26:27], v[36:37], v[38:39]
	v_add_f64 v[30:31], v[36:37], -v[38:39]
	v_add_f64 v[36:37], v[48:49], v[56:57]
	v_add_f64 v[48:49], v[48:49], -v[56:57]
	v_fma_f64 v[52:53], v[34:35], -0.5, v[40:41]
	v_fma_f64 v[56:57], v[44:45], s[28:29], v[163:164]
	ds_store_b128 v213, v[121:124]
	ds_store_b128 v213, v[16:19] offset:1600
	ds_store_b128 v213, v[24:27] offset:3200
	ds_store_b128 v213, v[125:128] offset:4800
	ds_store_b128 v213, v[20:23] offset:6400
	ds_store_b128 v213, v[28:31] offset:8000
	v_fma_f64 v[42:43], v[36:37], -0.5, v[42:43]
	v_fma_f64 v[36:37], v[48:49], s[26:27], v[52:53]
	v_fma_f64 v[48:49], v[48:49], s[28:29], v[52:53]
	;; [unrolled: 1-line block ×3, first 2 shown]
	s_delay_alu instid0(VALU_DEP_4) | instskip(SKIP_1) | instid1(VALU_DEP_4)
	v_fma_f64 v[34:35], v[50:51], s[28:29], v[42:43]
	v_fma_f64 v[42:43], v[50:51], s[26:27], v[42:43]
	v_mul_f64 v[44:45], v[48:49], -0.5
	s_delay_alu instid0(VALU_DEP_3) | instskip(NEXT) | instid1(VALU_DEP_2)
	v_mul_f64 v[38:39], v[34:35], s[26:27]
	v_fma_f64 v[50:51], v[42:43], s[26:27], v[44:45]
	v_mul_f64 v[42:43], v[42:43], -0.5
	s_delay_alu instid0(VALU_DEP_3) | instskip(SKIP_1) | instid1(VALU_DEP_3)
	v_fma_f64 v[38:39], v[36:37], 0.5, v[38:39]
	v_mul_f64 v[36:37], v[36:37], s[28:29]
	v_fma_f64 v[48:49], v[48:49], s[28:29], v[42:43]
	v_add_f64 v[42:43], v[46:47], v[50:51]
	v_add_f64 v[46:47], v[46:47], -v[50:51]
	v_add_f64 v[50:51], v[70:71], v[78:79]
	v_fma_f64 v[70:71], v[66:67], s[26:27], v[165:166]
	v_fma_f64 v[66:67], v[66:67], s[28:29], v[165:166]
	v_add_f64 v[78:79], v[86:87], -v[94:95]
	v_fma_f64 v[40:41], v[34:35], 0.5, v[36:37]
	v_add_f64 v[34:35], v[54:55], v[38:39]
	v_add_f64 v[38:39], v[54:55], -v[38:39]
	v_add_f64 v[44:45], v[52:53], v[48:49]
	v_add_f64 v[48:49], v[52:53], -v[48:49]
	;; [unrolled: 2-line block ×3, first 2 shown]
	v_fma_f64 v[60:61], v[50:51], -0.5, v[60:61]
	v_fma_f64 v[86:87], v[78:79], s[26:27], v[169:170]
	v_fma_f64 v[78:79], v[78:79], s[28:29], v[169:170]
	v_add_f64 v[36:37], v[56:57], v[40:41]
	v_add_f64 v[40:41], v[56:57], -v[40:41]
	ds_store_b128 v214, v[129:132]
	ds_store_b128 v214, v[34:37] offset:1600
	ds_store_b128 v214, v[42:45] offset:3200
	;; [unrolled: 1-line block ×5, first 2 shown]
	v_fma_f64 v[62:63], v[52:53], -0.5, v[62:63]
	v_fma_f64 v[52:53], v[68:69], s[26:27], v[60:61]
	v_fma_f64 v[60:61], v[68:69], s[28:29], v[60:61]
	scratch_store_b32 off, v0, off offset:1396 ; 4-byte Folded Spill
	v_fma_f64 v[50:51], v[58:59], s[28:29], v[62:63]
	v_fma_f64 v[58:59], v[58:59], s[26:27], v[62:63]
	v_mul_f64 v[62:63], v[60:61], -0.5
	s_delay_alu instid0(VALU_DEP_3) | instskip(NEXT) | instid1(VALU_DEP_2)
	v_mul_f64 v[54:55], v[50:51], s[26:27]
	v_fma_f64 v[62:63], v[58:59], s[26:27], v[62:63]
	v_mul_f64 v[58:59], v[58:59], -0.5
	s_delay_alu instid0(VALU_DEP_3) | instskip(SKIP_1) | instid1(VALU_DEP_3)
	v_fma_f64 v[54:55], v[52:53], 0.5, v[54:55]
	v_mul_f64 v[52:53], v[52:53], s[28:29]
	v_fma_f64 v[68:69], v[60:61], s[28:29], v[58:59]
	v_add_f64 v[58:59], v[66:67], v[62:63]
	v_add_f64 v[62:63], v[66:67], -v[62:63]
	v_add_f64 v[66:67], v[90:91], v[98:99]
	v_fma_f64 v[56:57], v[50:51], 0.5, v[52:53]
	v_add_f64 v[50:51], v[70:71], v[54:55]
	v_add_f64 v[60:61], v[64:65], v[68:69]
	v_add_f64 v[64:65], v[64:65], -v[68:69]
	v_add_f64 v[68:69], v[88:89], v[96:97]
	v_fma_f64 v[80:81], v[66:67], -0.5, v[80:81]
	v_add_f64 v[54:55], v[70:71], -v[54:55]
	v_add_f64 v[52:53], v[72:73], v[56:57]
	v_add_f64 v[56:57], v[72:73], -v[56:57]
	ds_store_b128 v0, v[137:140]
	ds_store_b128 v0, v[50:53] offset:1600
	ds_store_b128 v0, v[58:61] offset:3200
	;; [unrolled: 1-line block ×5, first 2 shown]
	v_fma_f64 v[76:77], v[68:69], -0.5, v[82:83]
	v_add_f64 v[82:83], v[84:85], -v[92:93]
	v_add_f64 v[84:85], v[88:89], -v[96:97]
	v_mad_u16 v0, 0x258, v109, v112
	s_delay_alu instid0(VALU_DEP_1) | instskip(NEXT) | instid1(VALU_DEP_1)
	v_and_b32_e32 v0, 0xffff, v0
	v_lshlrev_b32_e32 v215, 4, v0
	v_fma_f64 v[66:67], v[74:75], s[28:29], v[76:77]
	v_fma_f64 v[74:75], v[74:75], s[26:27], v[76:77]
	;; [unrolled: 1-line block ×6, first 2 shown]
	v_mul_f64 v[70:71], v[66:67], s[26:27]
	s_delay_alu instid0(VALU_DEP_4) | instskip(NEXT) | instid1(VALU_DEP_2)
	v_mul_f64 v[76:77], v[80:81], -0.5
	v_fma_f64 v[70:71], v[68:69], 0.5, v[70:71]
	v_mul_f64 v[68:69], v[68:69], s[28:29]
	s_delay_alu instid0(VALU_DEP_3) | instskip(SKIP_1) | instid1(VALU_DEP_3)
	v_fma_f64 v[84:85], v[74:75], s[26:27], v[76:77]
	v_mul_f64 v[74:75], v[74:75], -0.5
	v_fma_f64 v[72:73], v[66:67], 0.5, v[68:69]
	v_add_f64 v[66:67], v[86:87], v[70:71]
	v_add_f64 v[70:71], v[86:87], -v[70:71]
	s_delay_alu instid0(VALU_DEP_4)
	v_fma_f64 v[80:81], v[80:81], s[28:29], v[74:75]
	v_add_f64 v[74:75], v[78:79], v[84:85]
	v_add_f64 v[78:79], v[78:79], -v[84:85]
	v_add_f64 v[68:69], v[88:89], v[72:73]
	v_add_f64 v[72:73], v[88:89], -v[72:73]
	;; [unrolled: 2-line block ×3, first 2 shown]
	ds_store_b128 v215, v[145:148]
	ds_store_b128 v215, v[66:69] offset:1600
	ds_store_b128 v215, v[74:77] offset:3200
	;; [unrolled: 1-line block ×5, first 2 shown]
	s_waitcnt lgkmcnt(0)
	s_waitcnt_vscnt null, 0x0
	s_barrier
	buffer_gl0_inv
	global_load_b128 v[10:13], v[4:5], off offset:1248
	ds_load_b128 v[0:3], v32 offset:9600
	ds_load_b128 v[132:135], v32 offset:5760
	global_load_b128 v[252:255], v[4:5], off offset:1312
	ds_load_b128 v[82:85], v32 offset:46080
	ds_load_b128 v[164:167], v32 offset:3840
	s_waitcnt vmcnt(1) lgkmcnt(3)
	v_mul_f64 v[6:7], v[2:3], v[12:13]
	scratch_store_b128 off, v[10:13], off offset:1380 ; 16-byte Folded Spill
	v_fma_f64 v[154:155], v[0:1], v[10:11], -v[6:7]
	v_add_co_u32 v6, vcc_lo, 0x24e0, v8
	v_add_co_ci_u32_e32 v7, vcc_lo, 0, v9, vcc_lo
	v_mul_f64 v[0:1], v[0:1], v[12:13]
	global_load_b128 v[12:15], v[6:7], off offset:16
	v_fma_f64 v[136:137], v[2:3], v[10:11], v[0:1]
	ds_load_b128 v[0:3], v32 offset:19200
	s_waitcnt vmcnt(0) lgkmcnt(0)
	v_mul_f64 v[10:11], v[2:3], v[14:15]
	scratch_store_b128 off, v[12:15], off offset:1364 ; 16-byte Folded Spill
	v_fma_f64 v[110:111], v[0:1], v[12:13], -v[10:11]
	v_mul_f64 v[0:1], v[0:1], v[14:15]
	s_delay_alu instid0(VALU_DEP_1)
	v_fma_f64 v[100:101], v[2:3], v[12:13], v[0:1]
	global_load_b128 v[12:15], v[6:7], off offset:32
	ds_load_b128 v[0:3], v32 offset:28800
	s_waitcnt vmcnt(0) lgkmcnt(0)
	v_mul_f64 v[10:11], v[2:3], v[14:15]
	scratch_store_b128 off, v[12:15], off offset:1348 ; 16-byte Folded Spill
	v_fma_f64 v[46:47], v[0:1], v[12:13], -v[10:11]
	v_mul_f64 v[0:1], v[0:1], v[14:15]
	s_delay_alu instid0(VALU_DEP_1)
	v_fma_f64 v[98:99], v[2:3], v[12:13], v[0:1]
	global_load_b128 v[10:13], v[6:7], off offset:48
	ds_load_b128 v[0:3], v32 offset:38400
	s_waitcnt vmcnt(0) lgkmcnt(0)
	v_mul_f64 v[6:7], v[2:3], v[12:13]
	scratch_store_b128 off, v[10:13], off offset:1332 ; 16-byte Folded Spill
	v_fma_f64 v[96:97], v[0:1], v[10:11], -v[6:7]
	v_mul_f64 v[0:1], v[0:1], v[12:13]
	s_delay_alu instid0(VALU_DEP_1)
	v_fma_f64 v[44:45], v[2:3], v[10:11], v[0:1]
	v_add_co_u32 v10, vcc_lo, 0x4000, v8
	v_add_co_ci_u32_e32 v11, vcc_lo, 0, v9, vcc_lo
	ds_load_b128 v[0:3], v32 offset:48000
	s_clause 0x1
	global_load_b128 v[247:250], v[10:11], off offset:2656
	global_load_b128 v[239:242], v[10:11], off offset:2720
	s_waitcnt lgkmcnt(0)
	v_mul_f64 v[4:5], v[2:3], v[254:255]
	s_delay_alu instid0(VALU_DEP_1) | instskip(SKIP_1) | instid1(VALU_DEP_1)
	v_fma_f64 v[24:25], v[0:1], v[252:253], -v[4:5]
	v_mul_f64 v[0:1], v[0:1], v[254:255]
	v_fma_f64 v[26:27], v[2:3], v[252:253], v[0:1]
	ds_load_b128 v[0:3], v32 offset:11520
	s_waitcnt vmcnt(1) lgkmcnt(0)
	v_mul_f64 v[4:5], v[2:3], v[249:250]
	s_delay_alu instid0(VALU_DEP_1)
	v_fma_f64 v[124:125], v[0:1], v[247:248], -v[4:5]
	v_add_co_u32 v4, vcc_lo, 0x4a60, v8
	v_add_co_ci_u32_e32 v5, vcc_lo, 0, v9, vcc_lo
	v_mul_f64 v[0:1], v[0:1], v[249:250]
	s_clause 0x2
	global_load_b128 v[243:246], v[4:5], off offset:16
	global_load_b128 v[12:15], v[4:5], off offset:32
	;; [unrolled: 1-line block ×3, first 2 shown]
	v_fma_f64 v[122:123], v[2:3], v[247:248], v[0:1]
	ds_load_b128 v[0:3], v32 offset:21120
	s_waitcnt vmcnt(2) lgkmcnt(0)
	v_mul_f64 v[6:7], v[2:3], v[245:246]
	s_waitcnt vmcnt(1)
	scratch_store_b128 off, v[12:15], off offset:1400 ; 16-byte Folded Spill
	v_fma_f64 v[66:67], v[0:1], v[243:244], -v[6:7]
	v_mul_f64 v[0:1], v[0:1], v[245:246]
	s_delay_alu instid0(VALU_DEP_1) | instskip(SKIP_3) | instid1(VALU_DEP_1)
	v_fma_f64 v[64:65], v[2:3], v[243:244], v[0:1]
	ds_load_b128 v[0:3], v32 offset:30720
	s_waitcnt lgkmcnt(0)
	v_mul_f64 v[6:7], v[2:3], v[14:15]
	v_fma_f64 v[34:35], v[0:1], v[12:13], -v[6:7]
	v_mul_f64 v[0:1], v[0:1], v[14:15]
	ds_load_b128 v[4:7], v32 offset:40320
	v_fma_f64 v[30:31], v[2:3], v[12:13], v[0:1]
	s_waitcnt vmcnt(0) lgkmcnt(0)
	v_mul_f64 v[0:1], v[6:7], v[235:236]
	s_delay_alu instid0(VALU_DEP_1) | instskip(SKIP_1) | instid1(VALU_DEP_1)
	v_fma_f64 v[36:37], v[4:5], v[233:234], -v[0:1]
	v_mul_f64 v[0:1], v[4:5], v[235:236]
	v_fma_f64 v[38:39], v[6:7], v[233:234], v[0:1]
	ds_load_b128 v[4:7], v32 offset:49920
	s_waitcnt lgkmcnt(0)
	v_mul_f64 v[0:1], v[6:7], v[241:242]
	s_delay_alu instid0(VALU_DEP_1) | instskip(SKIP_1) | instid1(VALU_DEP_1)
	v_fma_f64 v[28:29], v[4:5], v[239:240], -v[0:1]
	v_mul_f64 v[0:1], v[4:5], v[241:242]
	v_fma_f64 v[40:41], v[6:7], v[239:240], v[0:1]
	v_add_co_u32 v0, vcc_lo, 0x6000, v8
	v_add_co_ci_u32_e32 v1, vcc_lo, 0, v9, vcc_lo
	ds_load_b128 v[4:7], v32 offset:13440
	global_load_b128 v[224:227], v[0:1], off offset:4064
	s_waitcnt vmcnt(0) lgkmcnt(0)
	v_mul_f64 v[0:1], v[6:7], v[226:227]
	s_delay_alu instid0(VALU_DEP_1) | instskip(SKIP_1) | instid1(VALU_DEP_1)
	v_fma_f64 v[120:121], v[4:5], v[224:225], -v[0:1]
	v_mul_f64 v[0:1], v[4:5], v[226:227]
	v_fma_f64 v[118:119], v[6:7], v[224:225], v[0:1]
	v_add_co_u32 v0, vcc_lo, 0x6fe0, v8
	v_add_co_ci_u32_e32 v1, vcc_lo, 0, v9, vcc_lo
	ds_load_b128 v[4:7], v32 offset:23040
	s_clause 0x2
	global_load_b128 v[220:223], v[0:1], off offset:16
	global_load_b128 v[228:231], v[0:1], off offset:32
	global_load_b128 v[216:219], v[0:1], off offset:48
	s_waitcnt vmcnt(2) lgkmcnt(0)
	v_mul_f64 v[2:3], v[6:7], v[222:223]
	s_delay_alu instid0(VALU_DEP_1) | instskip(SKIP_1) | instid1(VALU_DEP_1)
	v_fma_f64 v[48:49], v[4:5], v[220:221], -v[2:3]
	v_mul_f64 v[2:3], v[4:5], v[222:223]
	v_fma_f64 v[50:51], v[6:7], v[220:221], v[2:3]
	ds_load_b128 v[4:7], v32 offset:32640
	s_waitcnt vmcnt(1) lgkmcnt(0)
	v_mul_f64 v[2:3], v[6:7], v[230:231]
	s_delay_alu instid0(VALU_DEP_1) | instskip(SKIP_1) | instid1(VALU_DEP_1)
	v_fma_f64 v[54:55], v[4:5], v[228:229], -v[2:3]
	v_mul_f64 v[2:3], v[4:5], v[230:231]
	v_fma_f64 v[52:53], v[6:7], v[228:229], v[2:3]
	ds_load_b128 v[4:7], v32 offset:42240
	s_waitcnt vmcnt(0) lgkmcnt(0)
	v_mul_f64 v[0:1], v[6:7], v[218:219]
	s_delay_alu instid0(VALU_DEP_1) | instskip(SKIP_1) | instid1(VALU_DEP_1)
	v_fma_f64 v[56:57], v[4:5], v[216:217], -v[0:1]
	v_mul_f64 v[0:1], v[4:5], v[218:219]
	v_fma_f64 v[58:59], v[6:7], v[216:217], v[0:1]
	v_add_co_u32 v0, vcc_lo, 0x7000, v8
	v_add_co_ci_u32_e32 v1, vcc_lo, 0, v9, vcc_lo
	ds_load_b128 v[4:7], v32 offset:51840
	global_load_b128 v[208:211], v[0:1], off offset:32
	s_waitcnt vmcnt(0) lgkmcnt(0)
	v_mul_f64 v[0:1], v[6:7], v[210:211]
	s_delay_alu instid0(VALU_DEP_1) | instskip(SKIP_1) | instid1(VALU_DEP_1)
	v_fma_f64 v[62:63], v[4:5], v[208:209], -v[0:1]
	v_mul_f64 v[0:1], v[4:5], v[210:211]
	v_fma_f64 v[60:61], v[6:7], v[208:209], v[0:1]
	v_add_co_u32 v0, vcc_lo, 0x9000, v8
	v_add_co_ci_u32_e32 v1, vcc_lo, 0, v9, vcc_lo
	ds_load_b128 v[4:7], v32 offset:15360
	s_clause 0x1
	global_load_b128 v[200:203], v[0:1], off offset:1376
	global_load_b128 v[188:191], v[0:1], off offset:1440
	s_waitcnt vmcnt(1) lgkmcnt(0)
	v_mul_f64 v[2:3], v[6:7], v[202:203]
	s_delay_alu instid0(VALU_DEP_1) | instskip(SKIP_1) | instid1(VALU_DEP_1)
	v_fma_f64 v[116:117], v[4:5], v[200:201], -v[2:3]
	v_mul_f64 v[2:3], v[4:5], v[202:203]
	v_fma_f64 v[150:151], v[6:7], v[200:201], v[2:3]
	v_add_co_u32 v2, vcc_lo, 0x9560, v8
	v_add_co_ci_u32_e32 v3, vcc_lo, 0, v9, vcc_lo
	ds_load_b128 v[4:7], v32 offset:24960
	s_clause 0x2
	global_load_b128 v[196:199], v[2:3], off offset:16
	global_load_b128 v[192:195], v[2:3], off offset:32
	;; [unrolled: 1-line block ×3, first 2 shown]
	s_waitcnt vmcnt(2) lgkmcnt(0)
	v_mul_f64 v[10:11], v[6:7], v[198:199]
	s_delay_alu instid0(VALU_DEP_1) | instskip(SKIP_1) | instid1(VALU_DEP_1)
	v_fma_f64 v[68:69], v[4:5], v[196:197], -v[10:11]
	v_mul_f64 v[4:5], v[4:5], v[198:199]
	v_fma_f64 v[70:71], v[6:7], v[196:197], v[4:5]
	ds_load_b128 v[4:7], v32 offset:34560
	s_waitcnt vmcnt(1) lgkmcnt(0)
	v_mul_f64 v[10:11], v[6:7], v[194:195]
	s_delay_alu instid0(VALU_DEP_1) | instskip(SKIP_1) | instid1(VALU_DEP_1)
	v_fma_f64 v[74:75], v[4:5], v[192:193], -v[10:11]
	v_mul_f64 v[4:5], v[4:5], v[194:195]
	v_fma_f64 v[72:73], v[6:7], v[192:193], v[4:5]
	ds_load_b128 v[4:7], v32 offset:44160
	;; [unrolled: 7-line block ×3, first 2 shown]
	s_waitcnt lgkmcnt(0)
	v_mul_f64 v[0:1], v[6:7], v[190:191]
	s_delay_alu instid0(VALU_DEP_1) | instskip(SKIP_1) | instid1(VALU_DEP_1)
	v_fma_f64 v[90:91], v[4:5], v[188:189], -v[0:1]
	v_mul_f64 v[0:1], v[4:5], v[190:191]
	v_fma_f64 v[80:81], v[6:7], v[188:189], v[0:1]
	v_add_co_u32 v0, vcc_lo, 0xb000, v8
	v_add_co_ci_u32_e32 v1, vcc_lo, 0, v9, vcc_lo
	ds_load_b128 v[4:7], v32 offset:17280
	s_clause 0x1
	global_load_b128 v[180:183], v[0:1], off offset:2784
	global_load_b128 v[204:207], v[0:1], off offset:2848
	s_waitcnt vmcnt(1) lgkmcnt(0)
	v_mul_f64 v[2:3], v[6:7], v[182:183]
	s_delay_alu instid0(VALU_DEP_1) | instskip(SKIP_1) | instid1(VALU_DEP_1)
	v_fma_f64 v[92:93], v[4:5], v[180:181], -v[2:3]
	v_mul_f64 v[2:3], v[4:5], v[182:183]
	v_fma_f64 v[94:95], v[6:7], v[180:181], v[2:3]
	v_add_co_u32 v2, vcc_lo, 0xbae0, v8
	v_add_co_ci_u32_e32 v3, vcc_lo, 0, v9, vcc_lo
	ds_load_b128 v[4:7], v32 offset:26880
	s_clause 0x2
	global_load_b128 v[176:179], v[2:3], off offset:48
	global_load_b128 v[168:171], v[2:3], off offset:16
	;; [unrolled: 1-line block ×3, first 2 shown]
	s_waitcnt vmcnt(2)
	v_mul_f64 v[2:3], v[84:85], v[178:179]
	s_waitcnt vmcnt(1) lgkmcnt(0)
	v_mul_f64 v[8:9], v[6:7], v[170:171]
	s_delay_alu instid0(VALU_DEP_2) | instskip(SKIP_1) | instid1(VALU_DEP_3)
	v_fma_f64 v[106:107], v[82:83], v[176:177], -v[2:3]
	v_mul_f64 v[2:3], v[82:83], v[178:179]
	v_fma_f64 v[10:11], v[4:5], v[168:169], -v[8:9]
	v_mul_f64 v[4:5], v[4:5], v[170:171]
	s_delay_alu instid0(VALU_DEP_3)
	v_fma_f64 v[114:115], v[84:85], v[176:177], v[2:3]
	ds_load_b128 v[82:85], v32 offset:55680
	v_fma_f64 v[88:89], v[6:7], v[168:169], v[4:5]
	ds_load_b128 v[4:7], v32 offset:36480
	s_waitcnt lgkmcnt(1)
	v_mul_f64 v[0:1], v[84:85], v[206:207]
	s_waitcnt vmcnt(0) lgkmcnt(0)
	v_mul_f64 v[8:9], v[6:7], v[174:175]
	s_delay_alu instid0(VALU_DEP_2) | instskip(SKIP_1) | instid1(VALU_DEP_3)
	v_fma_f64 v[112:113], v[82:83], v[204:205], -v[0:1]
	v_mul_f64 v[0:1], v[82:83], v[206:207]
	v_fma_f64 v[86:87], v[4:5], v[172:173], -v[8:9]
	v_mul_f64 v[4:5], v[4:5], v[174:175]
	s_delay_alu instid0(VALU_DEP_3)
	v_fma_f64 v[108:109], v[84:85], v[204:205], v[0:1]
	v_add_f64 v[0:1], v[110:111], v[96:97]
	ds_load_b128 v[82:85], v32
	v_fma_f64 v[42:43], v[6:7], v[172:173], v[4:5]
	v_add_f64 v[4:5], v[154:155], v[46:47]
	v_add_f64 v[6:7], v[136:137], v[98:99]
	s_waitcnt lgkmcnt(0)
	v_add_f64 v[2:3], v[84:85], v[100:101]
	v_fma_f64 v[138:139], v[0:1], -0.5, v[82:83]
	v_add_f64 v[0:1], v[100:101], v[44:45]
	v_add_f64 v[100:101], v[100:101], -v[44:45]
	v_add_f64 v[4:5], v[4:5], v[24:25]
	v_add_f64 v[6:7], v[6:7], v[26:27]
	;; [unrolled: 1-line block ×3, first 2 shown]
	v_fma_f64 v[140:141], v[0:1], -0.5, v[84:85]
	v_add_f64 v[0:1], v[82:83], v[110:111]
	s_delay_alu instid0(VALU_DEP_3) | instskip(SKIP_2) | instid1(VALU_DEP_4)
	v_add_f64 v[84:85], v[2:3], v[6:7]
	v_add_f64 v[22:23], v[2:3], -v[6:7]
	v_add_f64 v[6:7], v[122:123], v[30:31]
	v_add_f64 v[0:1], v[0:1], v[96:97]
	v_add_f64 v[96:97], v[110:111], -v[96:97]
	s_delay_alu instid0(VALU_DEP_3) | instskip(NEXT) | instid1(VALU_DEP_3)
	v_add_f64 v[6:7], v[6:7], v[40:41]
	v_add_f64 v[82:83], v[0:1], v[4:5]
	v_add_f64 v[20:21], v[0:1], -v[4:5]
	v_add_f64 v[4:5], v[66:67], v[36:37]
	ds_load_b128 v[0:3], v32 offset:1920
	s_waitcnt lgkmcnt(0)
	v_fma_f64 v[142:143], v[4:5], -0.5, v[0:1]
	v_add_f64 v[4:5], v[64:65], v[38:39]
	v_add_f64 v[0:1], v[0:1], v[66:67]
	s_delay_alu instid0(VALU_DEP_2) | instskip(SKIP_1) | instid1(VALU_DEP_3)
	v_fma_f64 v[144:145], v[4:5], -0.5, v[2:3]
	v_add_f64 v[4:5], v[124:125], v[34:35]
	v_add_f64 v[0:1], v[0:1], v[36:37]
	;; [unrolled: 1-line block ×3, first 2 shown]
	s_delay_alu instid0(VALU_DEP_3) | instskip(NEXT) | instid1(VALU_DEP_2)
	v_add_f64 v[4:5], v[4:5], v[28:29]
	v_add_f64 v[2:3], v[2:3], v[38:39]
	v_add_f64 v[38:39], v[64:65], -v[38:39]
	v_add_f64 v[64:65], v[66:67], -v[36:37]
	s_delay_alu instid0(VALU_DEP_4)
	v_add_f64 v[16:17], v[0:1], v[4:5]
	v_add_f64 v[12:13], v[0:1], -v[4:5]
	v_add_f64 v[0:1], v[48:49], v[56:57]
	v_add_f64 v[4:5], v[120:121], v[54:55]
	;; [unrolled: 1-line block ×3, first 2 shown]
	v_add_f64 v[14:15], v[2:3], -v[6:7]
	v_add_f64 v[2:3], v[166:167], v[50:51]
	v_add_f64 v[6:7], v[118:119], v[52:53]
	v_fma_f64 v[146:147], v[0:1], -0.5, v[164:165]
	v_add_f64 v[0:1], v[50:51], v[58:59]
	v_add_f64 v[4:5], v[4:5], v[62:63]
	;; [unrolled: 1-line block ×4, first 2 shown]
	v_add_f64 v[58:59], v[50:51], -v[58:59]
	v_fma_f64 v[148:149], v[0:1], -0.5, v[166:167]
	v_add_f64 v[0:1], v[164:165], v[48:49]
	s_delay_alu instid0(VALU_DEP_4)
	v_add_f64 v[165:166], v[2:3], v[6:7]
	v_add_f64 v[104:105], v[2:3], -v[6:7]
	v_add_f64 v[2:3], v[134:135], v[70:71]
	v_add_f64 v[6:7], v[150:151], v[72:73]
	;; [unrolled: 1-line block ×3, first 2 shown]
	v_add_f64 v[56:57], v[48:49], -v[56:57]
	s_delay_alu instid0(VALU_DEP_4) | instskip(NEXT) | instid1(VALU_DEP_4)
	v_add_f64 v[2:3], v[2:3], v[78:79]
	v_add_f64 v[6:7], v[6:7], v[80:81]
	s_delay_alu instid0(VALU_DEP_4) | instskip(SKIP_4) | instid1(VALU_DEP_3)
	v_add_f64 v[163:164], v[0:1], v[4:5]
	v_add_f64 v[102:103], v[0:1], -v[4:5]
	v_add_f64 v[0:1], v[68:69], v[76:77]
	v_add_f64 v[4:5], v[116:117], v[74:75]
	v_add_f64 v[128:129], v[2:3], -v[6:7]
	v_fma_f64 v[152:153], v[0:1], -0.5, v[132:133]
	v_add_f64 v[0:1], v[70:71], v[78:79]
	s_delay_alu instid0(VALU_DEP_4) | instskip(SKIP_1) | instid1(VALU_DEP_3)
	v_add_f64 v[4:5], v[4:5], v[90:91]
	v_add_f64 v[78:79], v[70:71], -v[78:79]
	v_fma_f64 v[159:160], v[0:1], -0.5, v[134:135]
	v_add_f64 v[0:1], v[132:133], v[68:69]
	v_add_f64 v[132:133], v[2:3], v[6:7]
	;; [unrolled: 1-line block ×3, first 2 shown]
	s_delay_alu instid0(VALU_DEP_3) | instskip(SKIP_1) | instid1(VALU_DEP_3)
	v_add_f64 v[0:1], v[0:1], v[76:77]
	v_add_f64 v[76:77], v[68:69], -v[76:77]
	v_add_f64 v[134:135], v[6:7], v[112:113]
	v_add_f64 v[6:7], v[94:95], v[42:43]
	s_delay_alu instid0(VALU_DEP_4)
	v_add_f64 v[130:131], v[0:1], v[4:5]
	v_add_f64 v[126:127], v[0:1], -v[4:5]
	v_add_f64 v[4:5], v[10:11], v[106:107]
	ds_load_b128 v[0:3], v32 offset:7680
	v_add_f64 v[156:157], v[6:7], v[108:109]
	s_waitcnt lgkmcnt(0)
	v_fma_f64 v[161:162], v[4:5], -0.5, v[0:1]
	v_add_f64 v[4:5], v[88:89], v[114:115]
	v_add_f64 v[0:1], v[0:1], v[10:11]
	v_add_f64 v[10:11], v[10:11], -v[106:107]
	s_delay_alu instid0(VALU_DEP_3) | instskip(SKIP_1) | instid1(VALU_DEP_4)
	v_fma_f64 v[4:5], v[4:5], -0.5, v[2:3]
	v_add_f64 v[2:3], v[2:3], v[88:89]
	v_add_f64 v[0:1], v[0:1], v[106:107]
	s_delay_alu instid0(VALU_DEP_2) | instskip(NEXT) | instid1(VALU_DEP_2)
	v_add_f64 v[2:3], v[2:3], v[114:115]
	v_add_f64 v[6:7], v[0:1], v[134:135]
	v_add_f64 v[0:1], v[0:1], -v[134:135]
	v_add_f64 v[134:135], v[46:47], v[24:25]
	s_delay_alu instid0(VALU_DEP_4)
	v_add_f64 v[8:9], v[2:3], v[156:157]
	v_add_f64 v[2:3], v[2:3], -v[156:157]
	v_add_f64 v[156:157], v[46:47], -v[24:25]
	v_add_f64 v[24:25], v[98:99], v[26:27]
	v_add_f64 v[98:99], v[98:99], -v[26:27]
	v_fma_f64 v[110:111], v[134:135], -0.5, v[154:155]
	v_fma_f64 v[134:135], v[100:101], s[26:27], v[138:139]
	v_fma_f64 v[154:155], v[96:97], s[28:29], v[140:141]
	;; [unrolled: 1-line block ×3, first 2 shown]
	v_fma_f64 v[136:137], v[24:25], -0.5, v[136:137]
	v_fma_f64 v[26:27], v[98:99], s[26:27], v[110:111]
	v_fma_f64 v[98:99], v[98:99], s[28:29], v[110:111]
	;; [unrolled: 1-line block ×3, first 2 shown]
	s_delay_alu instid0(VALU_DEP_4) | instskip(SKIP_1) | instid1(VALU_DEP_2)
	v_fma_f64 v[24:25], v[156:157], s[28:29], v[136:137]
	v_fma_f64 v[96:97], v[156:157], s[26:27], v[136:137]
	v_mul_f64 v[44:45], v[24:25], s[26:27]
	s_delay_alu instid0(VALU_DEP_1) | instskip(SKIP_1) | instid1(VALU_DEP_1)
	v_fma_f64 v[44:45], v[26:27], 0.5, v[44:45]
	v_mul_f64 v[26:27], v[26:27], s[28:29]
	v_fma_f64 v[46:47], v[24:25], 0.5, v[26:27]
	s_delay_alu instid0(VALU_DEP_3) | instskip(SKIP_2) | instid1(VALU_DEP_4)
	v_add_f64 v[24:25], v[134:135], v[44:45]
	v_add_f64 v[44:45], v[134:135], -v[44:45]
	v_mul_f64 v[134:135], v[98:99], -0.5
	v_add_f64 v[26:27], v[154:155], v[46:47]
	v_add_f64 v[46:47], v[154:155], -v[46:47]
	s_delay_alu instid0(VALU_DEP_3) | instskip(SKIP_1) | instid1(VALU_DEP_1)
	v_fma_f64 v[134:135], v[96:97], s[26:27], v[134:135]
	v_mul_f64 v[96:97], v[96:97], -0.5
	v_fma_f64 v[136:137], v[98:99], s[28:29], v[96:97]
	s_delay_alu instid0(VALU_DEP_3) | instskip(SKIP_2) | instid1(VALU_DEP_4)
	v_add_f64 v[96:97], v[100:101], v[134:135]
	v_add_f64 v[134:135], v[100:101], -v[134:135]
	v_add_f64 v[100:101], v[34:35], v[28:29]
	v_add_f64 v[98:99], v[110:111], v[136:137]
	v_add_f64 v[136:137], v[110:111], -v[136:137]
	v_add_f64 v[110:111], v[34:35], -v[28:29]
	v_add_f64 v[28:29], v[30:31], v[40:41]
	v_add_f64 v[40:41], v[30:31], -v[40:41]
	v_fma_f64 v[66:67], v[100:101], -0.5, v[124:125]
	v_fma_f64 v[100:101], v[38:39], s[26:27], v[142:143]
	v_fma_f64 v[124:125], v[64:65], s[28:29], v[144:145]
	v_fma_f64 v[122:123], v[28:29], -0.5, v[122:123]
	s_delay_alu instid0(VALU_DEP_4) | instskip(SKIP_2) | instid1(VALU_DEP_4)
	v_fma_f64 v[30:31], v[40:41], s[26:27], v[66:67]
	v_fma_f64 v[40:41], v[40:41], s[28:29], v[66:67]
	;; [unrolled: 1-line block ×5, first 2 shown]
	s_delay_alu instid0(VALU_DEP_2) | instskip(NEXT) | instid1(VALU_DEP_1)
	v_mul_f64 v[34:35], v[28:29], s[26:27]
	v_fma_f64 v[34:35], v[30:31], 0.5, v[34:35]
	v_mul_f64 v[30:31], v[30:31], s[28:29]
	s_delay_alu instid0(VALU_DEP_1) | instskip(NEXT) | instid1(VALU_DEP_3)
	v_fma_f64 v[36:37], v[28:29], 0.5, v[30:31]
	v_add_f64 v[28:29], v[100:101], v[34:35]
	v_add_f64 v[34:35], v[100:101], -v[34:35]
	v_fma_f64 v[100:101], v[64:65], s[26:27], v[144:145]
	v_mul_f64 v[64:65], v[40:41], -0.5
	v_add_f64 v[30:31], v[124:125], v[36:37]
	v_add_f64 v[36:37], v[124:125], -v[36:37]
	s_delay_alu instid0(VALU_DEP_3) | instskip(SKIP_1) | instid1(VALU_DEP_1)
	v_fma_f64 v[64:65], v[38:39], s[26:27], v[64:65]
	v_mul_f64 v[38:39], v[38:39], -0.5
	v_fma_f64 v[110:111], v[40:41], s[28:29], v[38:39]
	s_delay_alu instid0(VALU_DEP_3) | instskip(SKIP_1) | instid1(VALU_DEP_3)
	v_add_f64 v[38:39], v[66:67], v[64:65]
	v_add_f64 v[64:65], v[66:67], -v[64:65]
	v_add_f64 v[40:41], v[100:101], v[110:111]
	v_add_f64 v[66:67], v[100:101], -v[110:111]
	;; [unrolled: 2-line block ×4, first 2 shown]
	s_delay_alu instid0(VALU_DEP_4) | instskip(SKIP_1) | instid1(VALU_DEP_4)
	v_fma_f64 v[100:101], v[100:101], -0.5, v[120:121]
	v_fma_f64 v[120:121], v[56:57], s[28:29], v[148:149]
	v_fma_f64 v[110:111], v[54:55], -0.5, v[118:119]
	v_fma_f64 v[118:119], v[58:59], s[26:27], v[146:147]
	s_delay_alu instid0(VALU_DEP_4) | instskip(SKIP_1) | instid1(VALU_DEP_4)
	v_fma_f64 v[50:51], v[60:61], s[26:27], v[100:101]
	v_fma_f64 v[60:61], v[60:61], s[28:29], v[100:101]
	;; [unrolled: 1-line block ×4, first 2 shown]
	s_delay_alu instid0(VALU_DEP_3) | instskip(NEXT) | instid1(VALU_DEP_3)
	v_mul_f64 v[58:59], v[60:61], -0.5
	v_mul_f64 v[52:53], v[48:49], s[26:27]
	s_delay_alu instid0(VALU_DEP_1) | instskip(SKIP_1) | instid1(VALU_DEP_1)
	v_fma_f64 v[52:53], v[50:51], 0.5, v[52:53]
	v_mul_f64 v[50:51], v[50:51], s[28:29]
	v_fma_f64 v[54:55], v[48:49], 0.5, v[50:51]
	s_delay_alu instid0(VALU_DEP_3)
	v_add_f64 v[48:49], v[118:119], v[52:53]
	v_add_f64 v[52:53], v[118:119], -v[52:53]
	v_fma_f64 v[118:119], v[56:57], s[26:27], v[148:149]
	v_fma_f64 v[56:57], v[62:63], s[26:27], v[110:111]
	v_add_f64 v[50:51], v[120:121], v[54:55]
	v_add_f64 v[54:55], v[120:121], -v[54:55]
	s_delay_alu instid0(VALU_DEP_3) | instskip(SKIP_1) | instid1(VALU_DEP_1)
	v_fma_f64 v[62:63], v[56:57], s[26:27], v[58:59]
	v_mul_f64 v[56:57], v[56:57], -0.5
	v_fma_f64 v[110:111], v[60:61], s[28:29], v[56:57]
	s_delay_alu instid0(VALU_DEP_3)
	v_add_f64 v[56:57], v[100:101], v[62:63]
	v_add_f64 v[60:61], v[100:101], -v[62:63]
	v_add_f64 v[100:101], v[74:75], v[90:91]
	v_add_f64 v[90:91], v[74:75], -v[90:91]
	;; [unrolled: 2-line block ×4, first 2 shown]
	v_fma_f64 v[118:119], v[76:77], s[28:29], v[159:160]
	v_fma_f64 v[100:101], v[100:101], -0.5, v[116:117]
	v_fma_f64 v[116:117], v[78:79], s[26:27], v[152:153]
	v_fma_f64 v[110:111], v[74:75], -0.5, v[150:151]
	s_delay_alu instid0(VALU_DEP_3) | instskip(SKIP_1) | instid1(VALU_DEP_3)
	v_fma_f64 v[70:71], v[80:81], s[26:27], v[100:101]
	v_fma_f64 v[80:81], v[80:81], s[28:29], v[100:101]
	;; [unrolled: 1-line block ×4, first 2 shown]
	s_delay_alu instid0(VALU_DEP_3) | instskip(NEXT) | instid1(VALU_DEP_3)
	v_mul_f64 v[78:79], v[80:81], -0.5
	v_mul_f64 v[72:73], v[68:69], s[26:27]
	s_delay_alu instid0(VALU_DEP_1) | instskip(SKIP_1) | instid1(VALU_DEP_1)
	v_fma_f64 v[72:73], v[70:71], 0.5, v[72:73]
	v_mul_f64 v[70:71], v[70:71], s[28:29]
	v_fma_f64 v[74:75], v[68:69], 0.5, v[70:71]
	s_delay_alu instid0(VALU_DEP_3) | instskip(SKIP_1) | instid1(VALU_DEP_3)
	v_add_f64 v[68:69], v[116:117], v[72:73]
	v_add_f64 v[72:73], v[116:117], -v[72:73]
	v_add_f64 v[70:71], v[118:119], v[74:75]
	v_add_f64 v[74:75], v[118:119], -v[74:75]
	v_fma_f64 v[118:119], v[76:77], s[26:27], v[159:160]
	v_fma_f64 v[76:77], v[90:91], s[26:27], v[110:111]
	v_add_f64 v[110:111], v[88:89], -v[114:115]
	s_delay_alu instid0(VALU_DEP_2) | instskip(SKIP_1) | instid1(VALU_DEP_3)
	v_fma_f64 v[90:91], v[76:77], s[26:27], v[78:79]
	v_mul_f64 v[76:77], v[76:77], -0.5
	v_fma_f64 v[106:107], v[110:111], s[26:27], v[161:162]
	s_delay_alu instid0(VALU_DEP_3) | instskip(NEXT) | instid1(VALU_DEP_3)
	v_add_f64 v[116:117], v[100:101], -v[90:91]
	v_fma_f64 v[80:81], v[80:81], s[28:29], v[76:77]
	v_add_f64 v[76:77], v[100:101], v[90:91]
	v_add_f64 v[100:101], v[86:87], -v[112:113]
	s_delay_alu instid0(VALU_DEP_3)
	v_add_f64 v[78:79], v[118:119], v[80:81]
	v_add_f64 v[118:119], v[118:119], -v[80:81]
	v_add_f64 v[80:81], v[86:87], v[112:113]
	v_add_f64 v[86:87], v[42:43], v[108:109]
	v_add_f64 v[42:43], v[42:43], -v[108:109]
	v_fma_f64 v[108:109], v[10:11], s[28:29], v[4:5]
	v_fma_f64 v[4:5], v[10:11], s[26:27], v[4:5]
	v_fma_f64 v[80:81], v[80:81], -0.5, v[92:93]
	v_fma_f64 v[94:95], v[86:87], -0.5, v[94:95]
	s_delay_alu instid0(VALU_DEP_2) | instskip(NEXT) | instid1(VALU_DEP_2)
	v_fma_f64 v[88:89], v[42:43], s[26:27], v[80:81]
	v_fma_f64 v[86:87], v[100:101], s[28:29], v[94:95]
	;; [unrolled: 1-line block ×5, first 2 shown]
	s_delay_alu instid0(VALU_DEP_4) | instskip(NEXT) | instid1(VALU_DEP_4)
	v_mul_f64 v[90:91], v[86:87], s[26:27]
	v_mul_f64 v[94:95], v[42:43], -0.5
	s_delay_alu instid0(VALU_DEP_2) | instskip(SKIP_1) | instid1(VALU_DEP_3)
	v_fma_f64 v[90:91], v[88:89], 0.5, v[90:91]
	v_mul_f64 v[88:89], v[88:89], s[28:29]
	v_fma_f64 v[94:95], v[10:11], s[26:27], v[94:95]
	v_mul_f64 v[10:11], v[10:11], -0.5
	s_delay_alu instid0(VALU_DEP_3) | instskip(SKIP_1) | instid1(VALU_DEP_3)
	v_fma_f64 v[92:93], v[86:87], 0.5, v[88:89]
	v_add_f64 v[86:87], v[106:107], v[90:91]
	v_fma_f64 v[10:11], v[42:43], s[28:29], v[10:11]
	v_add_f64 v[90:91], v[106:107], -v[90:91]
	v_add_f64 v[106:107], v[80:81], v[94:95]
	v_add_f64 v[110:111], v[80:81], -v[94:95]
	v_add_f64 v[88:89], v[108:109], v[92:93]
	;; [unrolled: 2-line block ×3, first 2 shown]
	v_add_f64 v[112:113], v[4:5], -v[10:11]
	ds_store_b128 v32, v[82:85]
	ds_store_b128 v32, v[20:23] offset:28800
	ds_store_b128 v32, v[16:19] offset:1920
	;; [unrolled: 1-line block ×29, first 2 shown]
	s_waitcnt lgkmcnt(0)
	s_waitcnt_vscnt null, 0x0
	s_barrier
	buffer_gl0_inv
	global_load_b128 v[2:5], v32, s[24:25]
	ds_load_b128 v[6:9], v32
	ds_load_b128 v[68:71], v32 offset:1920
	v_add_co_u32 v10, s10, s24, v32
	s_delay_alu instid0(VALU_DEP_1)
	v_add_co_ci_u32_e64 v11, null, s25, 0, s10
	ds_load_b128 v[16:19], v32 offset:11520
	ds_load_b128 v[128:131], v32 offset:9600
	;; [unrolled: 1-line block ×20, first 2 shown]
	s_waitcnt vmcnt(0) lgkmcnt(21)
	v_mul_f64 v[0:1], v[8:9], v[4:5]
	v_mul_f64 v[4:5], v[6:7], v[4:5]
	s_delay_alu instid0(VALU_DEP_2) | instskip(NEXT) | instid1(VALU_DEP_2)
	v_fma_f64 v[150:151], v[6:7], v[2:3], -v[0:1]
	v_fma_f64 v[152:153], v[8:9], v[2:3], v[4:5]
	v_add_co_u32 v8, vcc_lo, 0x1000, v10
	v_add_co_ci_u32_e32 v9, vcc_lo, 0, v11, vcc_lo
	ds_load_b128 v[4:7], v32 offset:5760
	global_load_b128 v[12:15], v[8:9], off offset:1664
	s_waitcnt vmcnt(0) lgkmcnt(0)
	v_mul_f64 v[0:1], v[6:7], v[14:15]
	v_mul_f64 v[2:3], v[4:5], v[14:15]
	s_delay_alu instid0(VALU_DEP_2) | instskip(SKIP_2) | instid1(VALU_DEP_4)
	v_fma_f64 v[146:147], v[4:5], v[12:13], -v[0:1]
	v_add_co_u32 v0, vcc_lo, 0x2000, v10
	v_add_co_ci_u32_e32 v1, vcc_lo, 0, v11, vcc_lo
	v_fma_f64 v[148:149], v[6:7], v[12:13], v[2:3]
	global_load_b128 v[12:15], v[0:1], off offset:3328
	s_waitcnt vmcnt(0)
	v_mul_f64 v[2:3], v[18:19], v[14:15]
	v_mul_f64 v[4:5], v[16:17], v[14:15]
	s_delay_alu instid0(VALU_DEP_2) | instskip(SKIP_2) | instid1(VALU_DEP_4)
	v_fma_f64 v[142:143], v[16:17], v[12:13], -v[2:3]
	v_add_co_u32 v2, vcc_lo, 0x4000, v10
	v_add_co_ci_u32_e32 v3, vcc_lo, 0, v11, vcc_lo
	v_fma_f64 v[144:145], v[18:19], v[12:13], v[4:5]
	global_load_b128 v[18:21], v[2:3], off offset:896
	s_waitcnt vmcnt(0)
	v_mul_f64 v[4:5], v[24:25], v[20:21]
	v_mul_f64 v[6:7], v[22:23], v[20:21]
	s_delay_alu instid0(VALU_DEP_2) | instskip(SKIP_2) | instid1(VALU_DEP_4)
	v_fma_f64 v[138:139], v[22:23], v[18:19], -v[4:5]
	v_add_co_u32 v4, vcc_lo, 0x5000, v10
	v_add_co_ci_u32_e32 v5, vcc_lo, 0, v11, vcc_lo
	v_fma_f64 v[140:141], v[24:25], v[18:19], v[6:7]
	s_clause 0x1
	global_load_b128 v[24:27], v[4:5], off offset:2560
	global_load_b128 v[163:166], v[4:5], off offset:640
	s_waitcnt vmcnt(1)
	v_mul_f64 v[6:7], v[30:31], v[26:27]
	v_mul_f64 v[12:13], v[28:29], v[26:27]
	s_delay_alu instid0(VALU_DEP_2) | instskip(SKIP_2) | instid1(VALU_DEP_4)
	v_fma_f64 v[28:29], v[28:29], v[24:25], -v[6:7]
	v_add_co_u32 v6, vcc_lo, 0x7000, v10
	v_add_co_ci_u32_e32 v7, vcc_lo, 0, v11, vcc_lo
	v_fma_f64 v[30:31], v[30:31], v[24:25], v[12:13]
	global_load_b128 v[34:37], v[6:7], off offset:128
	s_waitcnt vmcnt(0)
	v_mul_f64 v[12:13], v[40:41], v[36:37]
	v_mul_f64 v[14:15], v[38:39], v[36:37]
	s_delay_alu instid0(VALU_DEP_2) | instskip(SKIP_2) | instid1(VALU_DEP_4)
	v_fma_f64 v[36:37], v[38:39], v[34:35], -v[12:13]
	v_add_co_u32 v12, vcc_lo, 0x8000, v10
	v_add_co_ci_u32_e32 v13, vcc_lo, 0, v11, vcc_lo
	v_fma_f64 v[38:39], v[40:41], v[34:35], v[14:15]
	global_load_b128 v[40:43], v[12:13], off offset:1792
	s_waitcnt vmcnt(0)
	v_mul_f64 v[14:15], v[46:47], v[42:43]
	v_mul_f64 v[16:17], v[44:45], v[42:43]
	s_delay_alu instid0(VALU_DEP_2) | instskip(NEXT) | instid1(VALU_DEP_2)
	v_fma_f64 v[42:43], v[44:45], v[40:41], -v[14:15]
	v_fma_f64 v[44:45], v[46:47], v[40:41], v[16:17]
	v_add_co_u32 v16, vcc_lo, 0x9000, v10
	v_add_co_ci_u32_e32 v17, vcc_lo, 0, v11, vcc_lo
	global_load_b128 v[46:49], v[16:17], off offset:3456
	s_waitcnt vmcnt(0)
	v_mul_f64 v[14:15], v[52:53], v[48:49]
	v_mul_f64 v[18:19], v[50:51], v[48:49]
	s_delay_alu instid0(VALU_DEP_2) | instskip(SKIP_2) | instid1(VALU_DEP_4)
	v_fma_f64 v[48:49], v[50:51], v[46:47], -v[14:15]
	v_add_co_u32 v14, vcc_lo, 0xb000, v10
	v_add_co_ci_u32_e32 v15, vcc_lo, 0, v11, vcc_lo
	v_fma_f64 v[50:51], v[52:53], v[46:47], v[18:19]
	v_add_co_u32 v34, vcc_lo, 0xc000, v10
	global_load_b128 v[52:55], v[14:15], off offset:1024
	v_add_co_ci_u32_e32 v35, vcc_lo, 0, v11, vcc_lo
	s_waitcnt vmcnt(0)
	v_mul_f64 v[18:19], v[58:59], v[54:55]
	v_mul_f64 v[20:21], v[56:57], v[54:55]
	s_delay_alu instid0(VALU_DEP_2) | instskip(NEXT) | instid1(VALU_DEP_2)
	v_fma_f64 v[54:55], v[56:57], v[52:53], -v[18:19]
	v_fma_f64 v[56:57], v[58:59], v[52:53], v[20:21]
	global_load_b128 v[58:61], v[34:35], off offset:2688
	s_waitcnt vmcnt(0)
	v_mul_f64 v[18:19], v[64:65], v[60:61]
	v_mul_f64 v[20:21], v[62:63], v[60:61]
	s_delay_alu instid0(VALU_DEP_2) | instskip(NEXT) | instid1(VALU_DEP_2)
	v_fma_f64 v[60:61], v[62:63], v[58:59], -v[18:19]
	v_fma_f64 v[62:63], v[64:65], v[58:59], v[20:21]
	global_load_b128 v[64:67], v32, s[24:25] offset:1920
	s_waitcnt vmcnt(0)
	v_mul_f64 v[18:19], v[70:71], v[66:67]
	v_mul_f64 v[20:21], v[68:69], v[66:67]
	s_delay_alu instid0(VALU_DEP_2) | instskip(NEXT) | instid1(VALU_DEP_2)
	v_fma_f64 v[66:67], v[68:69], v[64:65], -v[18:19]
	v_fma_f64 v[68:69], v[70:71], v[64:65], v[20:21]
	global_load_b128 v[70:73], v[8:9], off offset:3584
	s_waitcnt vmcnt(0)
	v_mul_f64 v[8:9], v[76:77], v[72:73]
	v_mul_f64 v[18:19], v[74:75], v[72:73]
	s_delay_alu instid0(VALU_DEP_2) | instskip(NEXT) | instid1(VALU_DEP_2)
	v_fma_f64 v[72:73], v[74:75], v[70:71], -v[8:9]
	v_fma_f64 v[74:75], v[76:77], v[70:71], v[18:19]
	v_add_co_u32 v18, vcc_lo, 0x3000, v10
	v_add_co_ci_u32_e32 v19, vcc_lo, 0, v11, vcc_lo
	v_add_co_u32 v40, vcc_lo, 0x6000, v10
	v_add_co_ci_u32_e32 v41, vcc_lo, 0, v11, vcc_lo
	global_load_b128 v[76:79], v[18:19], off offset:1152
	v_add_co_u32 v46, vcc_lo, 0xa000, v10
	v_add_co_ci_u32_e32 v47, vcc_lo, 0, v11, vcc_lo
	v_add_co_u32 v52, vcc_lo, 0xd000, v10
	v_add_co_ci_u32_e32 v53, vcc_lo, 0, v11, vcc_lo
	s_waitcnt vmcnt(0)
	v_mul_f64 v[8:9], v[82:83], v[78:79]
	v_mul_f64 v[20:21], v[80:81], v[78:79]
	s_delay_alu instid0(VALU_DEP_2) | instskip(NEXT) | instid1(VALU_DEP_2)
	v_fma_f64 v[78:79], v[80:81], v[76:77], -v[8:9]
	v_fma_f64 v[80:81], v[82:83], v[76:77], v[20:21]
	global_load_b128 v[82:85], v[2:3], off offset:2816
	s_waitcnt vmcnt(0)
	v_mul_f64 v[2:3], v[88:89], v[84:85]
	v_mul_f64 v[8:9], v[86:87], v[84:85]
	s_delay_alu instid0(VALU_DEP_2) | instskip(NEXT) | instid1(VALU_DEP_2)
	v_fma_f64 v[84:85], v[86:87], v[82:83], -v[2:3]
	v_fma_f64 v[86:87], v[88:89], v[82:83], v[8:9]
	global_load_b128 v[88:91], v[40:41], off offset:384
	s_waitcnt vmcnt(0)
	v_mul_f64 v[2:3], v[94:95], v[90:91]
	v_mul_f64 v[8:9], v[92:93], v[90:91]
	s_delay_alu instid0(VALU_DEP_2)
	v_fma_f64 v[90:91], v[92:93], v[88:89], -v[2:3]
	scratch_load_b32 v2, off, off offset:484 ; 4-byte Folded Reload
	v_fma_f64 v[92:93], v[94:95], v[88:89], v[8:9]
	s_waitcnt vmcnt(0)
	global_load_b128 v[94:97], v2, s[24:25]
	s_waitcnt vmcnt(0)
	v_mul_f64 v[2:3], v[100:101], v[96:97]
	v_mul_f64 v[8:9], v[98:99], v[96:97]
	s_delay_alu instid0(VALU_DEP_2) | instskip(NEXT) | instid1(VALU_DEP_2)
	v_fma_f64 v[96:97], v[98:99], v[94:95], -v[2:3]
	v_fma_f64 v[98:99], v[100:101], v[94:95], v[8:9]
	global_load_b128 v[100:103], v[12:13], off offset:3712
	s_waitcnt vmcnt(0)
	v_mul_f64 v[2:3], v[106:107], v[102:103]
	v_mul_f64 v[8:9], v[104:105], v[102:103]
	s_delay_alu instid0(VALU_DEP_2) | instskip(NEXT) | instid1(VALU_DEP_2)
	v_fma_f64 v[102:103], v[104:105], v[100:101], -v[2:3]
	v_fma_f64 v[104:105], v[106:107], v[100:101], v[8:9]
	global_load_b128 v[106:109], v[46:47], off offset:1280
	;; [unrolled: 7-line block ×4, first 2 shown]
	ds_load_b128 v[118:121], v32 offset:53760
	s_waitcnt vmcnt(0) lgkmcnt(0)
	v_mul_f64 v[2:3], v[120:121], v[10:11]
	v_mul_f64 v[10:11], v[118:119], v[10:11]
	s_delay_alu instid0(VALU_DEP_2) | instskip(NEXT) | instid1(VALU_DEP_2)
	v_fma_f64 v[24:25], v[118:119], v[8:9], -v[2:3]
	v_fma_f64 v[26:27], v[120:121], v[8:9], v[10:11]
	global_load_b128 v[118:121], v32, s[24:25] offset:3840
	s_waitcnt vmcnt(0)
	v_mul_f64 v[2:3], v[124:125], v[120:121]
	v_mul_f64 v[8:9], v[122:123], v[120:121]
	s_delay_alu instid0(VALU_DEP_2) | instskip(NEXT) | instid1(VALU_DEP_2)
	v_fma_f64 v[120:121], v[122:123], v[118:119], -v[2:3]
	v_fma_f64 v[122:123], v[124:125], v[118:119], v[8:9]
	global_load_b128 v[124:127], v[0:1], off offset:1408
	s_waitcnt vmcnt(0)
	v_mul_f64 v[0:1], v[130:131], v[126:127]
	v_mul_f64 v[2:3], v[128:129], v[126:127]
	s_delay_alu instid0(VALU_DEP_2) | instskip(NEXT) | instid1(VALU_DEP_2)
	v_fma_f64 v[126:127], v[128:129], v[124:125], -v[0:1]
	v_fma_f64 v[128:129], v[130:131], v[124:125], v[2:3]
	s_clause 0x1
	global_load_b128 v[130:133], v[18:19], off offset:3072
	global_load_b128 v[16:19], v[16:17], off offset:1536
	s_waitcnt vmcnt(1)
	v_mul_f64 v[0:1], v[136:137], v[132:133]
	v_mul_f64 v[2:3], v[134:135], v[132:133]
	s_delay_alu instid0(VALU_DEP_2) | instskip(NEXT) | instid1(VALU_DEP_2)
	v_fma_f64 v[132:133], v[134:135], v[130:131], -v[0:1]
	v_fma_f64 v[134:135], v[136:137], v[130:131], v[2:3]
	ds_load_b128 v[0:3], v32 offset:21120
	s_waitcnt lgkmcnt(0)
	v_mul_f64 v[4:5], v[2:3], v[165:166]
	v_mul_f64 v[8:9], v[0:1], v[165:166]
	s_delay_alu instid0(VALU_DEP_2) | instskip(NEXT) | instid1(VALU_DEP_2)
	v_fma_f64 v[20:21], v[0:1], v[163:164], -v[4:5]
	v_fma_f64 v[22:23], v[2:3], v[163:164], v[8:9]
	global_load_b128 v[163:166], v[40:41], off offset:2304
	ds_load_b128 v[0:3], v32 offset:26880
	s_waitcnt vmcnt(0) lgkmcnt(0)
	v_mul_f64 v[4:5], v[2:3], v[165:166]
	v_mul_f64 v[8:9], v[0:1], v[165:166]
	s_delay_alu instid0(VALU_DEP_2) | instskip(NEXT) | instid1(VALU_DEP_2)
	v_fma_f64 v[12:13], v[0:1], v[163:164], -v[4:5]
	v_fma_f64 v[14:15], v[2:3], v[163:164], v[8:9]
	global_load_b128 v[163:166], v[6:7], off offset:3968
	ds_load_b128 v[0:3], v32 offset:32640
	s_waitcnt vmcnt(0) lgkmcnt(0)
	v_mul_f64 v[4:5], v[2:3], v[165:166]
	v_mul_f64 v[6:7], v[0:1], v[165:166]
	s_delay_alu instid0(VALU_DEP_2) | instskip(NEXT) | instid1(VALU_DEP_2)
	v_fma_f64 v[8:9], v[0:1], v[163:164], -v[4:5]
	v_fma_f64 v[10:11], v[2:3], v[163:164], v[6:7]
	ds_load_b128 v[163:166], v32 offset:38400
	s_waitcnt lgkmcnt(0)
	v_mul_f64 v[0:1], v[165:166], v[18:19]
	v_mul_f64 v[2:3], v[163:164], v[18:19]
	s_delay_alu instid0(VALU_DEP_2) | instskip(NEXT) | instid1(VALU_DEP_2)
	v_fma_f64 v[163:164], v[163:164], v[16:17], -v[0:1]
	v_fma_f64 v[165:166], v[165:166], v[16:17], v[2:3]
	global_load_b128 v[16:19], v[46:47], off offset:3200
	ds_load_b128 v[0:3], v32 offset:44160
	s_waitcnt vmcnt(0) lgkmcnt(0)
	v_mul_f64 v[4:5], v[2:3], v[18:19]
	v_mul_f64 v[6:7], v[0:1], v[18:19]
	s_delay_alu instid0(VALU_DEP_2) | instskip(NEXT) | instid1(VALU_DEP_2)
	v_fma_f64 v[4:5], v[0:1], v[16:17], -v[4:5]
	v_fma_f64 v[6:7], v[2:3], v[16:17], v[6:7]
	global_load_b128 v[16:19], v[34:35], off offset:768
	s_waitcnt vmcnt(0)
	v_mul_f64 v[0:1], v[161:162], v[18:19]
	v_mul_f64 v[2:3], v[159:160], v[18:19]
	s_delay_alu instid0(VALU_DEP_2) | instskip(NEXT) | instid1(VALU_DEP_2)
	v_fma_f64 v[159:160], v[159:160], v[16:17], -v[0:1]
	v_fma_f64 v[161:162], v[161:162], v[16:17], v[2:3]
	global_load_b128 v[16:19], v[52:53], off offset:2432
	ds_load_b128 v[0:3], v32 offset:55680
	s_waitcnt vmcnt(0) lgkmcnt(0)
	v_mul_f64 v[34:35], v[2:3], v[18:19]
	v_mul_f64 v[18:19], v[0:1], v[18:19]
	s_delay_alu instid0(VALU_DEP_2) | instskip(NEXT) | instid1(VALU_DEP_2)
	v_fma_f64 v[0:1], v[0:1], v[16:17], -v[34:35]
	v_fma_f64 v[2:3], v[2:3], v[16:17], v[18:19]
	ds_store_b128 v32, v[150:153]
	ds_store_b128 v32, v[146:149] offset:5760
	ds_store_b128 v32, v[142:145] offset:11520
	;; [unrolled: 1-line block ×29, first 2 shown]
	s_waitcnt lgkmcnt(0)
	s_barrier
	buffer_gl0_inv
	ds_load_b128 v[0:3], v32 offset:11520
	ds_load_b128 v[4:7], v32
	ds_load_b128 v[8:11], v32 offset:23040
	s_waitcnt lgkmcnt(1)
	v_add_f64 v[12:13], v[4:5], v[0:1]
	s_waitcnt lgkmcnt(0)
	v_add_f64 v[24:25], v[0:1], -v[8:9]
	v_add_f64 v[26:27], v[8:9], -v[0:1]
	;; [unrolled: 1-line block ×4, first 2 shown]
	v_add_f64 v[16:17], v[12:13], v[8:9]
	v_add_f64 v[12:13], v[6:7], v[2:3]
	s_delay_alu instid0(VALU_DEP_1)
	v_add_f64 v[18:19], v[12:13], v[10:11]
	ds_load_b128 v[12:15], v32 offset:34560
	s_waitcnt lgkmcnt(0)
	v_add_f64 v[20:21], v[8:9], v[12:13]
	v_add_f64 v[22:23], v[10:11], -v[14:15]
	v_add_f64 v[28:29], v[10:11], v[14:15]
	v_add_f64 v[30:31], v[8:9], -v[12:13]
	ds_load_b128 v[8:11], v32 offset:46080
	s_waitcnt lgkmcnt(0)
	v_add_f64 v[38:39], v[2:3], -v[10:11]
	v_add_f64 v[40:41], v[0:1], v[8:9]
	v_add_f64 v[56:57], v[0:1], -v[8:9]
	v_add_f64 v[42:43], v[2:3], v[10:11]
	v_add_f64 v[0:1], v[16:17], v[12:13]
	;; [unrolled: 1-line block ×3, first 2 shown]
	v_add_f64 v[44:45], v[8:9], -v[12:13]
	v_add_f64 v[58:59], v[12:13], -v[8:9]
	;; [unrolled: 1-line block ×4, first 2 shown]
	v_fma_f64 v[20:21], v[20:21], -0.5, v[4:5]
	v_fma_f64 v[28:29], v[28:29], -0.5, v[6:7]
	;; [unrolled: 1-line block ×4, first 2 shown]
	v_add_f64 v[48:49], v[0:1], v[8:9]
	v_add_f64 v[50:51], v[2:3], v[10:11]
	ds_load_b128 v[0:3], v32 offset:17280
	ds_load_b128 v[8:11], v32 offset:5760
	;; [unrolled: 1-line block ×3, first 2 shown]
	v_add_f64 v[26:27], v[26:27], v[58:59]
	s_waitcnt lgkmcnt(1)
	v_add_f64 v[16:17], v[8:9], v[0:1]
	s_waitcnt lgkmcnt(0)
	v_add_f64 v[64:65], v[0:1], -v[12:13]
	v_add_f64 v[66:67], v[12:13], -v[0:1]
	v_add_f64 v[70:71], v[2:3], -v[14:15]
	v_add_f64 v[72:73], v[14:15], -v[2:3]
	v_add_f64 v[52:53], v[16:17], v[12:13]
	v_add_f64 v[16:17], v[10:11], v[2:3]
	s_delay_alu instid0(VALU_DEP_1)
	v_add_f64 v[54:55], v[16:17], v[14:15]
	ds_load_b128 v[16:19], v32 offset:40320
	s_waitcnt lgkmcnt(0)
	v_add_f64 v[68:69], v[14:15], v[18:19]
	v_add_f64 v[52:53], v[52:53], v[16:17]
	v_add_f64 v[62:63], v[12:13], v[16:17]
	v_add_f64 v[76:77], v[14:15], -v[18:19]
	v_add_f64 v[78:79], v[12:13], -v[16:17]
	ds_load_b128 v[12:15], v32 offset:51840
	v_add_f64 v[54:55], v[54:55], v[18:19]
	s_waitcnt lgkmcnt(0)
	v_add_f64 v[74:75], v[0:1], v[12:13]
	v_add_f64 v[0:1], v[0:1], -v[12:13]
	v_add_f64 v[82:83], v[12:13], -v[16:17]
	;; [unrolled: 1-line block ×4, first 2 shown]
	v_add_f64 v[2:3], v[2:3], v[14:15]
	v_add_f64 v[84:85], v[14:15], -v[18:19]
	v_add_f64 v[18:19], v[18:19], -v[14:15]
	v_fma_f64 v[86:87], v[68:69], -0.5, v[10:11]
	v_add_f64 v[12:13], v[52:53], v[12:13]
	v_fma_f64 v[88:89], v[62:63], -0.5, v[8:9]
	v_add_f64 v[14:15], v[54:55], v[14:15]
	;; [unrolled: 2-line block ×4, first 2 shown]
	v_add_f64 v[24:25], v[70:71], v[84:85]
	v_add_f64 v[18:19], v[72:73], v[18:19]
	;; [unrolled: 1-line block ×3, first 2 shown]
	v_add_f64 v[48:49], v[48:49], -v[12:13]
	v_add_f64 v[12:13], v[34:35], v[46:47]
	v_fma_f64 v[34:35], v[0:1], s[14:15], v[86:87]
	v_fma_f64 v[40:41], v[80:81], s[16:17], v[88:89]
	v_add_f64 v[54:55], v[50:51], v[14:15]
	v_add_f64 v[50:51], v[50:51], -v[14:15]
	v_add_f64 v[14:15], v[64:65], v[82:83]
	v_fma_f64 v[58:59], v[76:77], s[14:15], v[8:9]
	v_fma_f64 v[8:9], v[76:77], s[16:17], v[8:9]
	;; [unrolled: 1-line block ×4, first 2 shown]
	s_delay_alu instid0(VALU_DEP_4) | instskip(NEXT) | instid1(VALU_DEP_4)
	v_fma_f64 v[58:59], v[80:81], s[8:9], v[58:59]
	v_fma_f64 v[8:9], v[80:81], s[2:3], v[8:9]
	s_delay_alu instid0(VALU_DEP_4) | instskip(NEXT) | instid1(VALU_DEP_4)
	v_fma_f64 v[34:35], v[24:25], s[12:13], v[34:35]
	v_fma_f64 v[40:41], v[14:15], s[12:13], v[40:41]
	;; [unrolled: 3-line block ×3, first 2 shown]
	s_delay_alu instid0(VALU_DEP_4) | instskip(NEXT) | instid1(VALU_DEP_1)
	v_mul_f64 v[42:43], v[34:35], s[8:9]
	v_fma_f64 v[44:45], v[40:41], s[22:23], v[42:43]
	v_mul_f64 v[40:41], v[40:41], s[2:3]
	v_fma_f64 v[42:43], v[56:57], s[14:15], v[28:29]
	s_delay_alu instid0(VALU_DEP_2) | instskip(SKIP_1) | instid1(VALU_DEP_3)
	v_fma_f64 v[34:35], v[34:35], s[22:23], v[40:41]
	v_fma_f64 v[40:41], v[38:39], s[16:17], v[20:21]
	;; [unrolled: 1-line block ×3, first 2 shown]
	s_delay_alu instid0(VALU_DEP_2) | instskip(NEXT) | instid1(VALU_DEP_2)
	v_fma_f64 v[40:41], v[22:23], s[8:9], v[40:41]
	v_fma_f64 v[62:63], v[12:13], s[12:13], v[42:43]
	s_delay_alu instid0(VALU_DEP_2) | instskip(NEXT) | instid1(VALU_DEP_2)
	v_fma_f64 v[46:47], v[10:11], s[12:13], v[40:41]
	v_add_f64 v[42:43], v[62:63], v[34:35]
	s_delay_alu instid0(VALU_DEP_2)
	v_add_f64 v[40:41], v[46:47], v[44:45]
	v_add_f64 v[44:45], v[46:47], -v[44:45]
	v_add_f64 v[46:47], v[62:63], -v[34:35]
	v_add_f64 v[34:35], v[36:37], v[60:61]
	v_fma_f64 v[36:37], v[78:79], s[16:17], v[2:3]
	v_fma_f64 v[2:3], v[78:79], s[14:15], v[2:3]
	s_delay_alu instid0(VALU_DEP_2) | instskip(NEXT) | instid1(VALU_DEP_2)
	v_fma_f64 v[36:37], v[0:1], s[2:3], v[36:37]
	v_fma_f64 v[2:3], v[0:1], s[8:9], v[2:3]
	;; [unrolled: 1-line block ×3, first 2 shown]
	s_delay_alu instid0(VALU_DEP_3) | instskip(NEXT) | instid1(VALU_DEP_3)
	v_fma_f64 v[36:37], v[18:19], s[12:13], v[36:37]
	v_fma_f64 v[2:3], v[18:19], s[12:13], v[2:3]
	s_delay_alu instid0(VALU_DEP_3) | instskip(NEXT) | instid1(VALU_DEP_3)
	v_fma_f64 v[0:1], v[78:79], s[8:9], v[0:1]
	v_mul_f64 v[60:61], v[36:37], s[16:17]
	v_mul_f64 v[36:37], v[36:37], s[12:13]
	s_delay_alu instid0(VALU_DEP_4)
	v_mul_f64 v[16:17], v[2:3], s[16:17]
	v_mul_f64 v[2:3], v[2:3], s[18:19]
	v_fma_f64 v[0:1], v[24:25], s[12:13], v[0:1]
	v_fma_f64 v[64:65], v[58:59], s[12:13], v[60:61]
	;; [unrolled: 1-line block ×9, first 2 shown]
	v_mul_f64 v[8:9], v[0:1], s[8:9]
	v_mul_f64 v[0:1], v[0:1], s[20:21]
	v_fma_f64 v[60:61], v[56:57], s[2:3], v[60:61]
	v_fma_f64 v[6:7], v[56:57], s[8:9], v[6:7]
	;; [unrolled: 1-line block ×4, first 2 shown]
	s_delay_alu instid0(VALU_DEP_4) | instskip(NEXT) | instid1(VALU_DEP_4)
	v_fma_f64 v[66:67], v[34:35], s[12:13], v[60:61]
	v_fma_f64 v[6:7], v[34:35], s[12:13], v[6:7]
	s_delay_alu instid0(VALU_DEP_4) | instskip(NEXT) | instid1(VALU_DEP_4)
	v_fma_f64 v[58:59], v[26:27], s[12:13], v[58:59]
	v_fma_f64 v[4:5], v[26:27], s[12:13], v[4:5]
	s_delay_alu instid0(VALU_DEP_4) | instskip(NEXT) | instid1(VALU_DEP_4)
	v_add_f64 v[62:63], v[66:67], v[36:37]
	v_add_f64 v[70:71], v[6:7], v[2:3]
	v_add_f64 v[74:75], v[6:7], -v[2:3]
	v_fma_f64 v[6:7], v[80:81], s[14:15], v[88:89]
	v_add_f64 v[68:69], v[4:5], v[16:17]
	v_add_f64 v[72:73], v[4:5], -v[16:17]
	v_fma_f64 v[2:3], v[38:39], s[14:15], v[20:21]
	v_fma_f64 v[4:5], v[56:57], s[16:17], v[28:29]
	v_add_f64 v[60:61], v[58:59], v[64:65]
	v_add_f64 v[64:65], v[58:59], -v[64:65]
	v_add_f64 v[66:67], v[66:67], -v[36:37]
	v_fma_f64 v[6:7], v[76:77], s[2:3], v[6:7]
	v_fma_f64 v[2:3], v[22:23], s[2:3], v[2:3]
	;; [unrolled: 1-line block ×3, first 2 shown]
	s_delay_alu instid0(VALU_DEP_3) | instskip(NEXT) | instid1(VALU_DEP_3)
	v_fma_f64 v[6:7], v[14:15], s[12:13], v[6:7]
	v_fma_f64 v[2:3], v[10:11], s[12:13], v[2:3]
	s_delay_alu instid0(VALU_DEP_3) | instskip(NEXT) | instid1(VALU_DEP_3)
	v_fma_f64 v[4:5], v[12:13], s[12:13], v[4:5]
	v_fma_f64 v[8:9], v[6:7], s[20:21], v[8:9]
	;; [unrolled: 1-line block ×3, first 2 shown]
	s_delay_alu instid0(VALU_DEP_2) | instskip(NEXT) | instid1(VALU_DEP_2)
	v_add_f64 v[76:77], v[2:3], v[8:9]
	v_add_f64 v[78:79], v[4:5], v[0:1]
	v_add_f64 v[80:81], v[2:3], -v[8:9]
	v_add_f64 v[82:83], v[4:5], -v[0:1]
	ds_load_b128 v[84:87], v32 offset:1920
	ds_load_b128 v[88:91], v32 offset:13440
	ds_load_b128 v[92:95], v32 offset:24960
	ds_load_b128 v[96:99], v32 offset:36480
	ds_load_b128 v[100:103], v32 offset:48000
	ds_load_b128 v[36:39], v32 offset:3840
	ds_load_b128 v[4:7], v32 offset:15360
	ds_load_b128 v[0:3], v32 offset:26880
	ds_load_b128 v[8:11], v32 offset:38400
	ds_load_b128 v[12:15], v32 offset:49920
	ds_load_b128 v[104:107], v32 offset:7680
	ds_load_b128 v[56:59], v32 offset:9600
	ds_load_b128 v[108:111], v32 offset:19200
	ds_load_b128 v[20:23], v32 offset:21120
	ds_load_b128 v[112:115], v32 offset:30720
	ds_load_b128 v[16:19], v32 offset:32640
	ds_load_b128 v[116:119], v32 offset:42240
	ds_load_b128 v[24:27], v32 offset:44160
	ds_load_b128 v[120:123], v32 offset:53760
	ds_load_b128 v[28:31], v32 offset:55680
	s_waitcnt lgkmcnt(0)
	s_barrier
	buffer_gl0_inv
	ds_store_b128 v251, v[52:55]
	ds_store_b128 v251, v[48:51] offset:80
	ds_store_b128 v251, v[40:43] offset:16
	ds_store_b128 v251, v[60:63] offset:32
	ds_store_b128 v251, v[68:71] offset:48
	ds_store_b128 v251, v[76:79] offset:64
	ds_store_b128 v251, v[44:47] offset:96
	ds_store_b128 v251, v[64:67] offset:112
	ds_store_b128 v251, v[72:75] offset:128
	ds_store_b128 v251, v[80:83] offset:144
	v_add_f64 v[40:41], v[86:87], v[90:91]
	v_add_f64 v[34:35], v[84:85], v[88:89]
	v_add_f64 v[76:77], v[94:95], -v[98:99]
	v_add_f64 v[44:45], v[94:95], v[98:99]
	v_add_f64 v[50:51], v[90:91], -v[94:95]
	v_add_f64 v[62:63], v[94:95], -v[90:91]
	v_add_f64 v[72:73], v[106:107], v[110:111]
	v_add_f64 v[42:43], v[92:93], v[96:97]
	v_add_f64 v[48:49], v[88:89], -v[92:93]
	v_add_f64 v[60:61], v[92:93], -v[88:89]
	;; [unrolled: 1-line block ×4, first 2 shown]
	v_add_f64 v[46:47], v[88:89], v[100:101]
	v_add_f64 v[82:83], v[88:89], -v[100:101]
	v_add_f64 v[52:53], v[90:91], v[102:103]
	v_add_f64 v[54:55], v[100:101], -v[96:97]
	v_add_f64 v[64:65], v[96:97], -v[100:101]
	;; [unrolled: 1-line block ×4, first 2 shown]
	v_add_f64 v[74:75], v[112:113], v[116:117]
	v_add_f64 v[88:89], v[114:115], -v[118:119]
	v_add_f64 v[90:91], v[108:109], -v[112:113]
	;; [unrolled: 1-line block ×3, first 2 shown]
	v_add_f64 v[40:41], v[40:41], v[94:95]
	v_add_f64 v[34:35], v[34:35], v[92:93]
	;; [unrolled: 1-line block ×3, first 2 shown]
	v_add_f64 v[92:93], v[112:113], -v[108:109]
	v_fma_f64 v[126:127], v[44:45], -0.5, v[86:87]
	v_add_f64 v[72:73], v[72:73], v[114:115]
	v_fma_f64 v[86:87], v[52:53], -0.5, v[86:87]
	v_add_f64 v[68:69], v[62:63], v[68:69]
	v_fma_f64 v[128:129], v[74:75], -0.5, v[104:105]
	v_add_f64 v[40:41], v[40:41], v[98:99]
	v_add_f64 v[34:35], v[34:35], v[96:97]
	v_add_f64 v[96:97], v[112:113], -v[116:117]
	v_add_f64 v[98:99], v[110:111], -v[114:115]
	v_fma_f64 v[94:95], v[94:95], -0.5, v[106:107]
	v_add_f64 v[72:73], v[72:73], v[118:119]
	v_add_f64 v[118:119], v[118:119], -v[122:123]
	v_add_f64 v[70:71], v[40:41], v[102:103]
	v_add_f64 v[40:41], v[104:105], v[108:109]
	;; [unrolled: 1-line block ×3, first 2 shown]
	v_add_f64 v[100:101], v[114:115], -v[110:111]
	v_add_f64 v[114:115], v[120:121], -v[116:117]
	;; [unrolled: 1-line block ×3, first 2 shown]
	v_add_f64 v[110:111], v[110:111], v[122:123]
	v_add_f64 v[98:99], v[98:99], v[124:125]
	;; [unrolled: 1-line block ×3, first 2 shown]
	v_fma_f64 v[122:123], v[42:43], -0.5, v[84:85]
	v_fma_f64 v[84:85], v[46:47], -0.5, v[84:85]
	v_add_f64 v[40:41], v[40:41], v[112:113]
	v_add_f64 v[112:113], v[108:109], v[120:121]
	v_add_f64 v[108:109], v[108:109], -v[120:121]
	v_add_f64 v[90:91], v[90:91], v[114:115]
	v_add_f64 v[42:43], v[70:71], v[72:73]
	v_add_f64 v[46:47], v[70:71], -v[72:73]
	v_add_f64 v[40:41], v[40:41], v[116:117]
	v_add_f64 v[116:117], v[116:117], -v[120:121]
	v_fma_f64 v[74:75], v[112:113], -0.5, v[104:105]
	v_fma_f64 v[104:105], v[110:111], -0.5, v[106:107]
	v_add_f64 v[106:107], v[50:51], v[66:67]
	v_fma_f64 v[50:51], v[102:103], s[16:17], v[128:129]
	v_add_f64 v[120:121], v[40:41], v[120:121]
	v_add_f64 v[72:73], v[92:93], v[116:117]
	;; [unrolled: 1-line block ×3, first 2 shown]
	v_fma_f64 v[62:63], v[88:89], s[14:15], v[74:75]
	v_fma_f64 v[50:51], v[88:89], s[8:9], v[50:51]
	v_add_f64 v[40:41], v[34:35], v[120:121]
	v_add_f64 v[44:45], v[34:35], -v[120:121]
	v_add_f64 v[34:35], v[48:49], v[54:55]
	v_fma_f64 v[48:49], v[108:109], s[14:15], v[94:95]
	v_fma_f64 v[62:63], v[102:103], s[8:9], v[62:63]
	;; [unrolled: 1-line block ×3, first 2 shown]
	s_delay_alu instid0(VALU_DEP_3) | instskip(NEXT) | instid1(VALU_DEP_3)
	v_fma_f64 v[48:49], v[96:97], s[2:3], v[48:49]
	v_fma_f64 v[62:63], v[72:73], s[12:13], v[62:63]
	s_delay_alu instid0(VALU_DEP_2) | instskip(NEXT) | instid1(VALU_DEP_1)
	v_fma_f64 v[48:49], v[98:99], s[12:13], v[48:49]
	v_mul_f64 v[52:53], v[48:49], s[8:9]
	s_delay_alu instid0(VALU_DEP_1) | instskip(SKIP_1) | instid1(VALU_DEP_1)
	v_fma_f64 v[52:53], v[50:51], s[22:23], v[52:53]
	v_mul_f64 v[50:51], v[50:51], s[2:3]
	v_fma_f64 v[54:55], v[48:49], s[22:23], v[50:51]
	v_fma_f64 v[50:51], v[82:83], s[14:15], v[126:127]
	;; [unrolled: 1-line block ×3, first 2 shown]
	s_delay_alu instid0(VALU_DEP_2) | instskip(NEXT) | instid1(VALU_DEP_2)
	v_fma_f64 v[50:51], v[78:79], s[2:3], v[50:51]
	v_fma_f64 v[48:49], v[76:77], s[8:9], v[48:49]
	s_delay_alu instid0(VALU_DEP_2) | instskip(NEXT) | instid1(VALU_DEP_2)
	v_fma_f64 v[70:71], v[106:107], s[12:13], v[50:51]
	v_fma_f64 v[66:67], v[34:35], s[12:13], v[48:49]
	s_delay_alu instid0(VALU_DEP_2)
	v_add_f64 v[50:51], v[70:71], v[54:55]
	v_add_f64 v[54:55], v[70:71], -v[54:55]
	v_add_f64 v[70:71], v[60:61], v[64:65]
	v_fma_f64 v[60:61], v[96:97], s[16:17], v[104:105]
	v_add_f64 v[48:49], v[66:67], v[52:53]
	v_add_f64 v[52:53], v[66:67], -v[52:53]
	s_delay_alu instid0(VALU_DEP_3) | instskip(NEXT) | instid1(VALU_DEP_1)
	v_fma_f64 v[60:61], v[108:109], s[2:3], v[60:61]
	v_fma_f64 v[60:61], v[92:93], s[12:13], v[60:61]
	s_delay_alu instid0(VALU_DEP_1) | instskip(SKIP_1) | instid1(VALU_DEP_2)
	v_mul_f64 v[64:65], v[60:61], s[16:17]
	v_mul_f64 v[60:61], v[60:61], s[12:13]
	v_fma_f64 v[64:65], v[62:63], s[12:13], v[64:65]
	s_delay_alu instid0(VALU_DEP_2) | instskip(SKIP_3) | instid1(VALU_DEP_3)
	v_fma_f64 v[66:67], v[62:63], s[14:15], v[60:61]
	v_fma_f64 v[60:61], v[76:77], s[14:15], v[84:85]
	;; [unrolled: 1-line block ×5, first 2 shown]
	s_delay_alu instid0(VALU_DEP_3) | instskip(NEXT) | instid1(VALU_DEP_3)
	v_fma_f64 v[84:85], v[80:81], s[2:3], v[84:85]
	v_fma_f64 v[62:63], v[82:83], s[2:3], v[62:63]
	;; [unrolled: 1-line block ×3, first 2 shown]
	s_delay_alu instid0(VALU_DEP_4) | instskip(NEXT) | instid1(VALU_DEP_4)
	v_fma_f64 v[100:101], v[70:71], s[12:13], v[60:61]
	v_fma_f64 v[84:85], v[70:71], s[12:13], v[84:85]
	;; [unrolled: 1-line block ×5, first 2 shown]
	v_add_f64 v[60:61], v[100:101], v[64:65]
	v_add_f64 v[64:65], v[100:101], -v[64:65]
	v_fma_f64 v[70:71], v[82:83], s[8:9], v[70:71]
	v_fma_f64 v[82:83], v[82:83], s[16:17], v[126:127]
	;; [unrolled: 1-line block ×3, first 2 shown]
	v_add_f64 v[62:63], v[110:111], v[66:67]
	v_add_f64 v[66:67], v[110:111], -v[66:67]
	v_fma_f64 v[86:87], v[68:69], s[12:13], v[70:71]
	v_fma_f64 v[68:69], v[96:97], s[14:15], v[104:105]
	;; [unrolled: 1-line block ×4, first 2 shown]
	s_delay_alu instid0(VALU_DEP_3) | instskip(NEXT) | instid1(VALU_DEP_3)
	v_fma_f64 v[68:69], v[108:109], s[8:9], v[68:69]
	v_fma_f64 v[70:71], v[102:103], s[2:3], v[70:71]
	s_delay_alu instid0(VALU_DEP_2) | instskip(NEXT) | instid1(VALU_DEP_2)
	v_fma_f64 v[68:69], v[92:93], s[12:13], v[68:69]
	v_fma_f64 v[70:71], v[72:73], s[12:13], v[70:71]
	s_delay_alu instid0(VALU_DEP_2) | instskip(SKIP_1) | instid1(VALU_DEP_2)
	v_mul_f64 v[72:73], v[68:69], s[16:17]
	v_mul_f64 v[68:69], v[68:69], s[18:19]
	v_fma_f64 v[72:73], v[70:71], s[18:19], v[72:73]
	s_delay_alu instid0(VALU_DEP_2) | instskip(NEXT) | instid1(VALU_DEP_2)
	v_fma_f64 v[74:75], v[70:71], s[14:15], v[68:69]
	v_add_f64 v[68:69], v[84:85], v[72:73]
	v_add_f64 v[72:73], v[84:85], -v[72:73]
	v_fma_f64 v[84:85], v[108:109], s[16:17], v[94:95]
	s_delay_alu instid0(VALU_DEP_4) | instskip(SKIP_2) | instid1(VALU_DEP_4)
	v_add_f64 v[70:71], v[86:87], v[74:75]
	v_add_f64 v[74:75], v[86:87], -v[74:75]
	v_fma_f64 v[86:87], v[102:103], s[14:15], v[128:129]
	v_fma_f64 v[84:85], v[96:97], s[8:9], v[84:85]
	s_delay_alu instid0(VALU_DEP_2) | instskip(NEXT) | instid1(VALU_DEP_2)
	v_fma_f64 v[80:81], v[88:89], s[2:3], v[86:87]
	v_fma_f64 v[82:83], v[98:99], s[12:13], v[84:85]
	;; [unrolled: 1-line block ×3, first 2 shown]
	s_delay_alu instid0(VALU_DEP_3) | instskip(NEXT) | instid1(VALU_DEP_3)
	v_fma_f64 v[76:77], v[90:91], s[12:13], v[80:81]
	v_mul_f64 v[78:79], v[82:83], s[8:9]
	v_mul_f64 v[80:81], v[82:83], s[20:21]
	s_delay_alu instid0(VALU_DEP_2) | instskip(NEXT) | instid1(VALU_DEP_2)
	v_fma_f64 v[82:83], v[76:77], s[20:21], v[78:79]
	v_fma_f64 v[86:87], v[76:77], s[2:3], v[80:81]
	s_delay_alu instid0(VALU_DEP_2) | instskip(SKIP_2) | instid1(VALU_DEP_4)
	v_add_f64 v[76:77], v[34:35], v[82:83]
	v_add_f64 v[80:81], v[34:35], -v[82:83]
	v_add_f64 v[34:35], v[36:37], v[4:5]
	v_add_f64 v[78:79], v[84:85], v[86:87]
	v_add_f64 v[82:83], v[84:85], -v[86:87]
	ds_store_b128 v238, v[40:43]
	ds_store_b128 v238, v[48:51] offset:16
	ds_store_b128 v238, v[60:63] offset:32
	;; [unrolled: 1-line block ×9, first 2 shown]
	v_add_f64 v[40:41], v[38:39], v[6:7]
	v_add_f64 v[42:43], v[0:1], v[8:9]
	;; [unrolled: 1-line block ×3, first 2 shown]
	v_add_f64 v[46:47], v[4:5], -v[0:1]
	v_add_f64 v[48:49], v[0:1], -v[4:5]
	;; [unrolled: 1-line block ×3, first 2 shown]
	v_add_f64 v[0:1], v[4:5], v[12:13]
	v_add_f64 v[64:65], v[4:5], -v[12:13]
	v_add_f64 v[44:45], v[2:3], -v[10:11]
	v_add_f64 v[50:51], v[2:3], v[10:11]
	v_add_f64 v[54:55], v[6:7], -v[2:3]
	v_add_f64 v[60:61], v[2:3], -v[6:7]
	;; [unrolled: 1-line block ×4, first 2 shown]
	v_add_f64 v[74:75], v[18:19], v[26:27]
	v_add_f64 v[68:69], v[18:19], -v[26:27]
	v_add_f64 v[70:71], v[20:21], -v[16:17]
	v_add_f64 v[72:73], v[16:17], -v[20:21]
	v_add_f64 v[76:77], v[16:17], -v[24:25]
	v_add_f64 v[78:79], v[22:23], -v[30:31]
	v_add_f64 v[80:81], v[20:21], v[28:29]
	v_add_f64 v[82:83], v[20:21], -v[28:29]
	v_add_f64 v[84:85], v[30:31], -v[26:27]
	v_add_f64 v[40:41], v[40:41], v[2:3]
	v_add_f64 v[2:3], v[6:7], v[14:15]
	;; [unrolled: 1-line block ×3, first 2 shown]
	v_add_f64 v[34:35], v[12:13], -v[8:9]
	v_fma_f64 v[42:43], v[42:43], -0.5, v[36:37]
	v_add_f64 v[6:7], v[40:41], v[10:11]
	v_add_f64 v[40:41], v[8:9], -v[12:13]
	v_add_f64 v[8:9], v[14:15], -v[10:11]
	v_add_f64 v[4:5], v[4:5], v[12:13]
	v_add_f64 v[10:11], v[56:57], v[20:21]
	;; [unrolled: 1-line block ×11, first 2 shown]
	v_add_f64 v[16:17], v[22:23], -v[18:19]
	v_add_f64 v[18:19], v[18:19], -v[22:23]
	;; [unrolled: 1-line block ×3, first 2 shown]
	v_add_f64 v[48:49], v[60:61], v[66:67]
	v_add_f64 v[10:11], v[10:11], v[24:25]
	v_add_f64 v[12:13], v[12:13], v[26:27]
	v_add_f64 v[24:25], v[24:25], -v[28:29]
	v_add_f64 v[26:27], v[26:27], -v[30:31]
	v_add_f64 v[54:55], v[70:71], v[22:23]
	v_add_f64 v[70:71], v[16:17], v[84:85]
	;; [unrolled: 1-line block ×4, first 2 shown]
	v_fma_f64 v[28:29], v[0:1], -0.5, v[36:37]
	v_fma_f64 v[36:37], v[50:51], -0.5, v[38:39]
	;; [unrolled: 1-line block ×7, first 2 shown]
	v_add_f64 v[26:27], v[18:19], v[26:27]
	v_add_f64 v[24:25], v[72:73], v[24:25]
	;; [unrolled: 1-line block ×3, first 2 shown]
	v_add_f64 v[4:5], v[4:5], -v[10:11]
	v_add_f64 v[2:3], v[6:7], v[12:13]
	v_add_f64 v[6:7], v[6:7], -v[12:13]
	v_fma_f64 v[8:9], v[82:83], s[14:15], v[38:39]
	v_fma_f64 v[10:11], v[78:79], s[16:17], v[50:51]
	;; [unrolled: 1-line block ×4, first 2 shown]
	s_delay_alu instid0(VALU_DEP_4) | instskip(NEXT) | instid1(VALU_DEP_4)
	v_fma_f64 v[8:9], v[76:77], s[2:3], v[8:9]
	v_fma_f64 v[10:11], v[68:69], s[8:9], v[10:11]
	s_delay_alu instid0(VALU_DEP_4) | instskip(NEXT) | instid1(VALU_DEP_4)
	v_fma_f64 v[38:39], v[76:77], s[8:9], v[38:39]
	v_fma_f64 v[18:19], v[78:79], s[8:9], v[18:19]
	;; [unrolled: 3-line block ×4, first 2 shown]
	s_delay_alu instid0(VALU_DEP_4) | instskip(NEXT) | instid1(VALU_DEP_1)
	v_mul_f64 v[12:13], v[8:9], s[8:9]
	v_fma_f64 v[12:13], v[10:11], s[22:23], v[12:13]
	v_mul_f64 v[10:11], v[10:11], s[2:3]
	s_delay_alu instid0(VALU_DEP_1) | instskip(SKIP_3) | instid1(VALU_DEP_3)
	v_fma_f64 v[14:15], v[8:9], s[22:23], v[10:11]
	v_fma_f64 v[8:9], v[62:63], s[16:17], v[42:43]
	v_fma_f64 v[10:11], v[64:65], s[14:15], v[36:37]
	v_fma_f64 v[36:37], v[64:65], s[16:17], v[36:37]
	v_fma_f64 v[8:9], v[44:45], s[8:9], v[8:9]
	s_delay_alu instid0(VALU_DEP_3) | instskip(NEXT) | instid1(VALU_DEP_3)
	v_fma_f64 v[10:11], v[52:53], s[2:3], v[10:11]
	v_fma_f64 v[36:37], v[52:53], s[8:9], v[36:37]
	s_delay_alu instid0(VALU_DEP_3) | instskip(NEXT) | instid1(VALU_DEP_3)
	v_fma_f64 v[16:17], v[34:35], s[12:13], v[8:9]
	v_fma_f64 v[20:21], v[46:47], s[12:13], v[10:11]
	s_delay_alu instid0(VALU_DEP_2) | instskip(SKIP_2) | instid1(VALU_DEP_4)
	v_add_f64 v[8:9], v[16:17], v[12:13]
	v_add_f64 v[12:13], v[16:17], -v[12:13]
	v_fma_f64 v[16:17], v[76:77], s[16:17], v[58:59]
	v_add_f64 v[10:11], v[20:21], v[14:15]
	v_add_f64 v[14:15], v[20:21], -v[14:15]
	s_delay_alu instid0(VALU_DEP_3) | instskip(NEXT) | instid1(VALU_DEP_1)
	v_fma_f64 v[16:17], v[82:83], s[2:3], v[16:17]
	v_fma_f64 v[16:17], v[26:27], s[12:13], v[16:17]
	s_delay_alu instid0(VALU_DEP_1) | instskip(SKIP_1) | instid1(VALU_DEP_2)
	v_mul_f64 v[20:21], v[16:17], s[16:17]
	v_mul_f64 v[16:17], v[16:17], s[12:13]
	v_fma_f64 v[20:21], v[18:19], s[12:13], v[20:21]
	s_delay_alu instid0(VALU_DEP_2) | instskip(SKIP_4) | instid1(VALU_DEP_4)
	v_fma_f64 v[22:23], v[18:19], s[14:15], v[16:17]
	v_fma_f64 v[16:17], v[44:45], s[14:15], v[28:29]
	;; [unrolled: 1-line block ×6, first 2 shown]
	s_delay_alu instid0(VALU_DEP_4) | instskip(NEXT) | instid1(VALU_DEP_4)
	v_fma_f64 v[28:29], v[62:63], s[2:3], v[28:29]
	v_fma_f64 v[18:19], v[64:65], s[2:3], v[18:19]
	s_delay_alu instid0(VALU_DEP_4) | instskip(NEXT) | instid1(VALU_DEP_4)
	v_fma_f64 v[30:31], v[64:65], s[8:9], v[30:31]
	v_fma_f64 v[60:61], v[40:41], s[12:13], v[16:17]
	s_delay_alu instid0(VALU_DEP_4)
	v_fma_f64 v[28:29], v[40:41], s[12:13], v[28:29]
	v_fma_f64 v[40:41], v[76:77], s[14:15], v[58:59]
	;; [unrolled: 1-line block ×4, first 2 shown]
	v_add_f64 v[16:17], v[60:61], v[20:21]
	v_add_f64 v[20:21], v[60:61], -v[20:21]
	v_fma_f64 v[40:41], v[82:83], s[8:9], v[40:41]
	v_add_f64 v[18:19], v[66:67], v[22:23]
	v_add_f64 v[22:23], v[66:67], -v[22:23]
	s_delay_alu instid0(VALU_DEP_3) | instskip(SKIP_1) | instid1(VALU_DEP_1)
	v_fma_f64 v[26:27], v[26:27], s[12:13], v[40:41]
	v_fma_f64 v[40:41], v[68:69], s[16:17], v[56:57]
	;; [unrolled: 1-line block ×3, first 2 shown]
	s_delay_alu instid0(VALU_DEP_1) | instskip(NEXT) | instid1(VALU_DEP_4)
	v_fma_f64 v[24:25], v[24:25], s[12:13], v[40:41]
	v_mul_f64 v[40:41], v[26:27], s[16:17]
	v_mul_f64 v[26:27], v[26:27], s[18:19]
	s_delay_alu instid0(VALU_DEP_2) | instskip(NEXT) | instid1(VALU_DEP_2)
	v_fma_f64 v[40:41], v[24:25], s[18:19], v[40:41]
	v_fma_f64 v[48:49], v[24:25], s[14:15], v[26:27]
	s_delay_alu instid0(VALU_DEP_2)
	v_add_f64 v[24:25], v[28:29], v[40:41]
	v_add_f64 v[28:29], v[28:29], -v[40:41]
	v_fma_f64 v[40:41], v[62:63], s[14:15], v[42:43]
	v_fma_f64 v[42:43], v[78:79], s[14:15], v[50:51]
	v_add_f64 v[26:27], v[30:31], v[48:49]
	v_add_f64 v[30:31], v[30:31], -v[48:49]
	s_delay_alu instid0(VALU_DEP_4) | instskip(NEXT) | instid1(VALU_DEP_4)
	v_fma_f64 v[40:41], v[44:45], s[2:3], v[40:41]
	v_fma_f64 v[42:43], v[68:69], s[2:3], v[42:43]
	;; [unrolled: 1-line block ×3, first 2 shown]
	v_mul_f64 v[36:37], v[38:39], s[8:9]
	v_mul_f64 v[38:39], v[38:39], s[20:21]
	v_fma_f64 v[40:41], v[34:35], s[12:13], v[40:41]
	v_fma_f64 v[34:35], v[54:55], s[12:13], v[42:43]
	s_delay_alu instid0(VALU_DEP_1) | instskip(NEXT) | instid1(VALU_DEP_4)
	v_fma_f64 v[42:43], v[34:35], s[20:21], v[36:37]
	v_fma_f64 v[46:47], v[34:35], s[2:3], v[38:39]
	s_delay_alu instid0(VALU_DEP_2) | instskip(NEXT) | instid1(VALU_DEP_2)
	v_add_f64 v[34:35], v[40:41], v[42:43]
	v_add_f64 v[36:37], v[44:45], v[46:47]
	v_add_f64 v[38:39], v[40:41], -v[42:43]
	v_add_f64 v[40:41], v[44:45], -v[46:47]
	ds_store_b128 v237, v[0:3]
	ds_store_b128 v237, v[8:11] offset:16
	ds_store_b128 v237, v[16:19] offset:32
	;; [unrolled: 1-line block ×9, first 2 shown]
	s_waitcnt lgkmcnt(0)
	s_barrier
	buffer_gl0_inv
	scratch_load_b128 v[6:9], off, off offset:488 ; 16-byte Folded Reload
	ds_load_b128 v[0:3], v32 offset:5760
	s_waitcnt vmcnt(0) lgkmcnt(0)
	v_mul_f64 v[4:5], v[8:9], v[2:3]
	s_delay_alu instid0(VALU_DEP_1) | instskip(SKIP_1) | instid1(VALU_DEP_1)
	v_fma_f64 v[88:89], v[6:7], v[0:1], v[4:5]
	v_mul_f64 v[0:1], v[8:9], v[0:1]
	v_fma_f64 v[96:97], v[6:7], v[2:3], -v[0:1]
	scratch_load_b128 v[6:9], off, off offset:504 ; 16-byte Folded Reload
	ds_load_b128 v[0:3], v32 offset:11520
	s_waitcnt vmcnt(0) lgkmcnt(0)
	v_mul_f64 v[4:5], v[8:9], v[2:3]
	s_delay_alu instid0(VALU_DEP_1) | instskip(SKIP_1) | instid1(VALU_DEP_1)
	v_fma_f64 v[98:99], v[6:7], v[0:1], v[4:5]
	v_mul_f64 v[0:1], v[8:9], v[0:1]
	v_fma_f64 v[100:101], v[6:7], v[2:3], -v[0:1]
	;; [unrolled: 8-line block ×5, first 2 shown]
	scratch_load_b128 v[6:9], off, off offset:568 ; 16-byte Folded Reload
	ds_load_b128 v[0:3], v32 offset:34560
	s_waitcnt vmcnt(0) lgkmcnt(0)
	v_mul_f64 v[4:5], v[8:9], v[2:3]
	s_delay_alu instid0(VALU_DEP_1) | instskip(SKIP_1) | instid1(VALU_DEP_2)
	v_fma_f64 v[114:115], v[6:7], v[0:1], v[4:5]
	v_mul_f64 v[0:1], v[8:9], v[0:1]
	v_add_f64 v[162:163], v[106:107], -v[114:115]
	s_delay_alu instid0(VALU_DEP_2)
	v_fma_f64 v[116:117], v[6:7], v[2:3], -v[0:1]
	scratch_load_b128 v[6:9], off, off offset:584 ; 16-byte Folded Reload
	ds_load_b128 v[0:3], v32 offset:40320
	v_add_f64 v[158:159], v[108:109], -v[116:117]
	s_waitcnt vmcnt(0) lgkmcnt(0)
	v_mul_f64 v[4:5], v[8:9], v[2:3]
	s_delay_alu instid0(VALU_DEP_1) | instskip(SKIP_1) | instid1(VALU_DEP_2)
	v_fma_f64 v[118:119], v[6:7], v[0:1], v[4:5]
	v_mul_f64 v[0:1], v[8:9], v[0:1]
	v_add_f64 v[148:149], v[110:111], -v[118:119]
	s_delay_alu instid0(VALU_DEP_2)
	v_fma_f64 v[120:121], v[6:7], v[2:3], -v[0:1]
	scratch_load_b128 v[6:9], off, off offset:600 ; 16-byte Folded Reload
	ds_load_b128 v[0:3], v32 offset:46080
	v_add_f64 v[152:153], v[112:113], -v[120:121]
	;; [unrolled: 11-line block ×3, first 2 shown]
	v_add_f64 v[156:157], v[100:101], -v[124:125]
	s_waitcnt vmcnt(0) lgkmcnt(0)
	v_mul_f64 v[4:5], v[8:9], v[2:3]
	s_delay_alu instid0(VALU_DEP_1) | instskip(SKIP_1) | instid1(VALU_DEP_2)
	v_fma_f64 v[126:127], v[6:7], v[0:1], v[4:5]
	v_mul_f64 v[0:1], v[8:9], v[0:1]
	v_add_f64 v[14:15], v[126:127], -v[118:119]
	s_delay_alu instid0(VALU_DEP_2)
	v_fma_f64 v[128:129], v[6:7], v[2:3], -v[0:1]
	scratch_load_b128 v[6:9], off, off offset:632 ; 16-byte Folded Reload
	ds_load_b128 v[0:3], v32 offset:7680
	v_add_f64 v[146:147], v[102:103], -v[126:127]
	v_add_f64 v[150:151], v[104:105], -v[128:129]
	s_waitcnt vmcnt(0) lgkmcnt(0)
	v_mul_f64 v[4:5], v[8:9], v[2:3]
	s_delay_alu instid0(VALU_DEP_1) | instskip(SKIP_1) | instid1(VALU_DEP_1)
	v_fma_f64 v[76:77], v[6:7], v[0:1], v[4:5]
	v_mul_f64 v[0:1], v[8:9], v[0:1]
	v_fma_f64 v[64:65], v[6:7], v[2:3], -v[0:1]
	scratch_load_b128 v[6:9], off, off offset:648 ; 16-byte Folded Reload
	ds_load_b128 v[0:3], v32 offset:13440
	s_waitcnt vmcnt(0) lgkmcnt(0)
	v_mul_f64 v[4:5], v[8:9], v[2:3]
	s_delay_alu instid0(VALU_DEP_1) | instskip(SKIP_1) | instid1(VALU_DEP_1)
	v_fma_f64 v[28:29], v[6:7], v[0:1], v[4:5]
	v_mul_f64 v[0:1], v[8:9], v[0:1]
	v_fma_f64 v[74:75], v[6:7], v[2:3], -v[0:1]
	scratch_load_b128 v[6:9], off, off offset:664 ; 16-byte Folded Reload
	ds_load_b128 v[0:3], v32 offset:19200
	;; [unrolled: 8-line block ×17, first 2 shown]
	s_waitcnt vmcnt(0) lgkmcnt(0)
	v_mul_f64 v[4:5], v[8:9], v[2:3]
	s_delay_alu instid0(VALU_DEP_1) | instskip(SKIP_2) | instid1(VALU_DEP_2)
	v_fma_f64 v[50:51], v[6:7], v[0:1], v[4:5]
	v_mul_f64 v[0:1], v[8:9], v[0:1]
	v_add_f64 v[4:5], v[106:107], v[114:115]
	v_fma_f64 v[44:45], v[6:7], v[2:3], -v[0:1]
	ds_load_b128 v[0:3], v32
	v_add_f64 v[6:7], v[96:97], v[104:105]
	s_waitcnt lgkmcnt(0)
	v_fma_f64 v[130:131], v[4:5], -0.5, v[0:1]
	v_add_f64 v[4:5], v[98:99], v[122:123]
	s_delay_alu instid0(VALU_DEP_3) | instskip(NEXT) | instid1(VALU_DEP_2)
	v_add_f64 v[6:7], v[6:7], v[112:113]
	v_fma_f64 v[132:133], v[4:5], -0.5, v[0:1]
	v_add_f64 v[4:5], v[108:109], v[116:117]
	v_add_f64 v[0:1], v[0:1], v[98:99]
	s_delay_alu instid0(VALU_DEP_4) | instskip(NEXT) | instid1(VALU_DEP_3)
	v_add_f64 v[6:7], v[6:7], v[120:121]
	v_fma_f64 v[134:135], v[4:5], -0.5, v[2:3]
	v_add_f64 v[4:5], v[100:101], v[124:125]
	s_delay_alu instid0(VALU_DEP_4) | instskip(NEXT) | instid1(VALU_DEP_4)
	v_add_f64 v[0:1], v[0:1], v[106:107]
	v_add_f64 v[10:11], v[6:7], v[128:129]
	s_delay_alu instid0(VALU_DEP_3) | instskip(SKIP_3) | instid1(VALU_DEP_3)
	v_fma_f64 v[136:137], v[4:5], -0.5, v[2:3]
	v_add_f64 v[2:3], v[2:3], v[100:101]
	v_add_f64 v[4:5], v[88:89], v[102:103]
	v_add_f64 v[0:1], v[0:1], v[114:115]
	v_add_f64 v[2:3], v[2:3], v[108:109]
	s_delay_alu instid0(VALU_DEP_3) | instskip(NEXT) | instid1(VALU_DEP_3)
	v_add_f64 v[4:5], v[4:5], v[110:111]
	v_add_f64 v[0:1], v[0:1], v[122:123]
	s_delay_alu instid0(VALU_DEP_3) | instskip(NEXT) | instid1(VALU_DEP_3)
	v_add_f64 v[2:3], v[2:3], v[116:117]
	v_add_f64 v[4:5], v[4:5], v[118:119]
	s_delay_alu instid0(VALU_DEP_2) | instskip(NEXT) | instid1(VALU_DEP_2)
	v_add_f64 v[2:3], v[2:3], v[124:125]
	v_add_f64 v[8:9], v[4:5], v[126:127]
	s_delay_alu instid0(VALU_DEP_2) | instskip(NEXT) | instid1(VALU_DEP_2)
	v_add_f64 v[6:7], v[2:3], v[10:11]
	v_add_f64 v[4:5], v[0:1], v[8:9]
	v_add_f64 v[8:9], v[0:1], -v[8:9]
	v_add_f64 v[10:11], v[2:3], -v[10:11]
	;; [unrolled: 1-line block ×7, first 2 shown]
	s_delay_alu instid0(VALU_DEP_4)
	v_add_f64 v[0:1], v[0:1], v[2:3]
	v_add_f64 v[2:3], v[100:101], -v[108:109]
	v_add_f64 v[100:101], v[108:109], -v[100:101]
	;; [unrolled: 1-line block ×4, first 2 shown]
	v_add_f64 v[106:107], v[98:99], v[106:107]
	v_add_f64 v[124:125], v[70:71], -v[66:67]
	v_add_f64 v[2:3], v[2:3], v[12:13]
	v_add_f64 v[12:13], v[102:103], -v[110:111]
	v_add_f64 v[108:109], v[100:101], v[108:109]
	s_delay_alu instid0(VALU_DEP_2) | instskip(SKIP_2) | instid1(VALU_DEP_1)
	v_add_f64 v[138:139], v[12:13], v[14:15]
	v_add_f64 v[12:13], v[104:105], -v[112:113]
	v_add_f64 v[14:15], v[128:129], -v[120:121]
	v_add_f64 v[140:141], v[12:13], v[14:15]
	v_add_f64 v[12:13], v[110:111], v[118:119]
	v_add_f64 v[110:111], v[110:111], -v[102:103]
	v_add_f64 v[102:103], v[102:103], v[126:127]
	v_add_f64 v[126:127], v[28:29], -v[16:17]
	s_delay_alu instid0(VALU_DEP_4)
	v_fma_f64 v[142:143], v[12:13], -0.5, v[88:89]
	v_add_f64 v[12:13], v[112:113], v[120:121]
	v_add_f64 v[112:113], v[112:113], -v[104:105]
	v_add_f64 v[104:105], v[104:105], v[128:129]
	v_fma_f64 v[88:89], v[102:103], -0.5, v[88:89]
	v_add_f64 v[110:111], v[110:111], v[114:115]
	v_add_f64 v[128:129], v[26:27], -v[20:21]
	v_fma_f64 v[14:15], v[150:151], s[16:17], v[142:143]
	v_fma_f64 v[144:145], v[12:13], -0.5, v[96:97]
	v_add_f64 v[112:113], v[112:113], v[116:117]
	v_fma_f64 v[104:105], v[104:105], -0.5, v[96:97]
	v_fma_f64 v[98:99], v[152:153], s[14:15], v[88:89]
	v_fma_f64 v[88:89], v[152:153], s[16:17], v[88:89]
	;; [unrolled: 1-line block ×16, first 2 shown]
	s_delay_alu instid0(VALU_DEP_4) | instskip(SKIP_1) | instid1(VALU_DEP_4)
	v_fma_f64 v[104:105], v[112:113], s[12:13], v[104:105]
	v_fma_f64 v[112:113], v[156:157], s[14:15], v[130:131]
	v_mul_f64 v[84:85], v[12:13], s[8:9]
	v_mul_f64 v[12:13], v[12:13], s[22:23]
	v_mul_f64 v[100:101], v[96:97], s[16:17]
	v_mul_f64 v[96:97], v[96:97], s[12:13]
	v_fma_f64 v[112:113], v[158:159], s[2:3], v[112:113]
	v_fma_f64 v[154:155], v[14:15], s[22:23], v[84:85]
	;; [unrolled: 1-line block ×9, first 2 shown]
	s_delay_alu instid0(VALU_DEP_4) | instskip(NEXT) | instid1(VALU_DEP_4)
	v_fma_f64 v[96:97], v[156:157], s[8:9], v[96:97]
	v_fma_f64 v[98:99], v[160:161], s[2:3], v[98:99]
	s_delay_alu instid0(VALU_DEP_4) | instskip(NEXT) | instid1(VALU_DEP_4)
	v_fma_f64 v[12:13], v[158:159], s[8:9], v[12:13]
	v_fma_f64 v[84:85], v[162:163], s[2:3], v[84:85]
	;; [unrolled: 3-line block ×4, first 2 shown]
	v_fma_f64 v[0:1], v[0:1], s[12:13], v[112:113]
	v_add_f64 v[96:97], v[114:115], v[100:101]
	v_add_f64 v[100:101], v[114:115], -v[100:101]
	v_fma_f64 v[114:115], v[158:159], s[16:17], v[132:133]
	v_add_f64 v[98:99], v[116:117], v[102:103]
	v_add_f64 v[102:103], v[116:117], -v[102:103]
	v_add_f64 v[84:85], v[12:13], v[154:155]
	v_add_f64 v[86:87], v[164:165], v[14:15]
	v_add_f64 v[12:13], v[12:13], -v[154:155]
	v_add_f64 v[14:15], v[164:165], -v[14:15]
	v_fma_f64 v[114:115], v[156:157], s[2:3], v[114:115]
	s_delay_alu instid0(VALU_DEP_1) | instskip(SKIP_1) | instid1(VALU_DEP_1)
	v_fma_f64 v[114:115], v[106:107], s[12:13], v[114:115]
	v_fma_f64 v[106:107], v[162:163], s[14:15], v[136:137]
	;; [unrolled: 1-line block ×3, first 2 shown]
	s_delay_alu instid0(VALU_DEP_1) | instskip(SKIP_2) | instid1(VALU_DEP_2)
	v_fma_f64 v[116:117], v[108:109], s[12:13], v[106:107]
	v_mul_f64 v[106:107], v[104:105], s[16:17]
	v_mul_f64 v[104:105], v[104:105], s[18:19]
	v_fma_f64 v[108:109], v[88:89], s[18:19], v[106:107]
	s_delay_alu instid0(VALU_DEP_2) | instskip(NEXT) | instid1(VALU_DEP_2)
	v_fma_f64 v[88:89], v[88:89], s[14:15], v[104:105]
	v_add_f64 v[104:105], v[114:115], v[108:109]
	s_delay_alu instid0(VALU_DEP_2)
	v_add_f64 v[106:107], v[116:117], v[88:89]
	v_add_f64 v[110:111], v[116:117], -v[88:89]
	v_fma_f64 v[88:89], v[146:147], s[16:17], v[144:145]
	v_add_f64 v[108:109], v[114:115], -v[108:109]
	v_fma_f64 v[114:115], v[160:161], s[16:17], v[134:135]
	v_fma_f64 v[116:117], v[150:151], s[14:15], v[142:143]
	s_delay_alu instid0(VALU_DEP_4) | instskip(NEXT) | instid1(VALU_DEP_3)
	v_fma_f64 v[88:89], v[148:149], s[8:9], v[88:89]
	v_fma_f64 v[114:115], v[162:163], s[8:9], v[114:115]
	s_delay_alu instid0(VALU_DEP_3) | instskip(NEXT) | instid1(VALU_DEP_3)
	v_fma_f64 v[116:117], v[152:153], s[2:3], v[116:117]
	v_fma_f64 v[88:89], v[140:141], s[12:13], v[88:89]
	s_delay_alu instid0(VALU_DEP_3) | instskip(NEXT) | instid1(VALU_DEP_3)
	v_fma_f64 v[2:3], v[2:3], s[12:13], v[114:115]
	v_fma_f64 v[112:113], v[138:139], s[12:13], v[116:117]
	s_delay_alu instid0(VALU_DEP_3) | instskip(SKIP_1) | instid1(VALU_DEP_2)
	v_mul_f64 v[114:115], v[88:89], s[8:9]
	v_mul_f64 v[88:89], v[88:89], s[20:21]
	v_fma_f64 v[116:117], v[112:113], s[20:21], v[114:115]
	s_delay_alu instid0(VALU_DEP_2) | instskip(NEXT) | instid1(VALU_DEP_2)
	v_fma_f64 v[88:89], v[112:113], s[2:3], v[88:89]
	v_add_f64 v[112:113], v[0:1], v[116:117]
	s_delay_alu instid0(VALU_DEP_2)
	v_add_f64 v[114:115], v[2:3], v[88:89]
	v_add_f64 v[116:117], v[0:1], -v[116:117]
	v_add_f64 v[118:119], v[2:3], -v[88:89]
	ds_load_b128 v[0:3], v32 offset:3840
	ds_load_b128 v[120:123], v32 offset:1920
	s_waitcnt lgkmcnt(0)
	s_barrier
	buffer_gl0_inv
	ds_store_b128 v212, v[4:7]
	ds_store_b128 v212, v[8:11] offset:800
	ds_store_b128 v212, v[84:87] offset:160
	;; [unrolled: 1-line block ×9, first 2 shown]
	v_add_f64 v[4:5], v[26:27], v[20:21]
	v_add_f64 v[6:7], v[122:123], v[74:75]
	;; [unrolled: 1-line block ×4, first 2 shown]
	v_add_f64 v[118:119], v[30:31], -v[18:19]
	v_add_f64 v[116:117], v[68:69], -v[94:95]
	;; [unrolled: 1-line block ×3, first 2 shown]
	v_fma_f64 v[88:89], v[4:5], -0.5, v[120:121]
	v_add_f64 v[4:5], v[28:29], v[16:17]
	v_add_f64 v[6:7], v[6:7], v[70:71]
	;; [unrolled: 1-line block ×4, first 2 shown]
	s_delay_alu instid0(VALU_DEP_4) | instskip(SKIP_4) | instid1(VALU_DEP_4)
	v_fma_f64 v[96:97], v[4:5], -0.5, v[120:121]
	v_add_f64 v[4:5], v[70:71], v[66:67]
	v_add_f64 v[6:7], v[6:7], v[66:67]
	;; [unrolled: 1-line block ×4, first 2 shown]
	v_fma_f64 v[98:99], v[4:5], -0.5, v[122:123]
	v_add_f64 v[4:5], v[74:75], v[92:93]
	v_add_f64 v[14:15], v[6:7], v[92:93]
	;; [unrolled: 1-line block ×4, first 2 shown]
	s_delay_alu instid0(VALU_DEP_4) | instskip(SKIP_2) | instid1(VALU_DEP_4)
	v_fma_f64 v[100:101], v[4:5], -0.5, v[122:123]
	v_add_f64 v[4:5], v[120:121], v[28:29]
	v_add_f64 v[120:121], v[24:25], -v[22:23]
	v_add_f64 v[6:7], v[14:15], v[10:11]
	v_add_f64 v[10:11], v[14:15], -v[10:11]
	v_add_f64 v[14:15], v[16:17], -v[20:21]
	;; [unrolled: 1-line block ×3, first 2 shown]
	v_add_f64 v[4:5], v[4:5], v[26:27]
	s_delay_alu instid0(VALU_DEP_1) | instskip(NEXT) | instid1(VALU_DEP_1)
	v_add_f64 v[4:5], v[4:5], v[20:21]
	v_add_f64 v[12:13], v[4:5], v[16:17]
	v_add_f64 v[16:17], v[20:21], -v[16:17]
	v_add_f64 v[20:21], v[70:71], -v[74:75]
	s_delay_alu instid0(VALU_DEP_3) | instskip(SKIP_4) | instid1(VALU_DEP_3)
	v_add_f64 v[4:5], v[12:13], v[8:9]
	v_add_f64 v[8:9], v[12:13], -v[8:9]
	v_add_f64 v[12:13], v[28:29], -v[26:27]
	;; [unrolled: 1-line block ×4, first 2 shown]
	v_add_f64 v[102:103], v[12:13], v[14:15]
	v_add_f64 v[12:13], v[74:75], -v[70:71]
	v_add_f64 v[14:15], v[92:93], -v[66:67]
	;; [unrolled: 1-line block ×3, first 2 shown]
	v_add_f64 v[26:27], v[26:27], v[16:17]
	v_add_f64 v[70:71], v[94:95], -v[90:91]
	v_add_f64 v[28:29], v[20:21], v[28:29]
	v_add_f64 v[92:93], v[82:83], -v[36:37]
	v_add_f64 v[104:105], v[12:13], v[14:15]
	v_add_f64 v[12:13], v[72:73], -v[68:69]
	v_add_f64 v[14:15], v[90:91], -v[94:95]
	v_add_f64 v[66:67], v[66:67], v[70:71]
	s_delay_alu instid0(VALU_DEP_2) | instskip(SKIP_2) | instid1(VALU_DEP_1)
	v_add_f64 v[106:107], v[12:13], v[14:15]
	v_add_f64 v[12:13], v[30:31], -v[24:25]
	v_add_f64 v[14:15], v[18:19], -v[22:23]
	v_add_f64 v[108:109], v[12:13], v[14:15]
	v_add_f64 v[12:13], v[68:69], v[94:95]
	;; [unrolled: 1-line block ×3, first 2 shown]
	v_add_f64 v[90:91], v[62:63], -v[44:45]
	v_add_f64 v[94:95], v[60:61], -v[48:49]
	s_delay_alu instid0(VALU_DEP_4)
	v_fma_f64 v[110:111], v[12:13], -0.5, v[76:77]
	v_add_f64 v[12:13], v[24:25], v[22:23]
	v_add_f64 v[24:25], v[24:25], -v[30:31]
	v_add_f64 v[30:31], v[30:31], v[18:19]
	v_add_f64 v[18:19], v[22:23], -v[18:19]
	v_fma_f64 v[14:15], v[118:119], s[16:17], v[110:111]
	v_fma_f64 v[112:113], v[12:13], -0.5, v[64:65]
	s_delay_alu instid0(VALU_DEP_4)
	v_fma_f64 v[30:31], v[30:31], -0.5, v[64:65]
	v_fma_f64 v[64:65], v[68:69], -0.5, v[76:77]
	v_add_f64 v[24:25], v[24:25], v[18:19]
	v_fma_f64 v[14:15], v[120:121], s[8:9], v[14:15]
	v_fma_f64 v[12:13], v[114:115], s[14:15], v[112:113]
	;; [unrolled: 1-line block ×4, first 2 shown]
	s_delay_alu instid0(VALU_DEP_4) | instskip(NEXT) | instid1(VALU_DEP_4)
	v_fma_f64 v[14:15], v[106:107], s[12:13], v[14:15]
	v_fma_f64 v[12:13], v[116:117], s[2:3], v[12:13]
	s_delay_alu instid0(VALU_DEP_4) | instskip(NEXT) | instid1(VALU_DEP_4)
	v_fma_f64 v[16:17], v[114:115], s[2:3], v[16:17]
	v_fma_f64 v[18:19], v[118:119], s[8:9], v[18:19]
	s_delay_alu instid0(VALU_DEP_3) | instskip(NEXT) | instid1(VALU_DEP_3)
	v_fma_f64 v[12:13], v[108:109], s[12:13], v[12:13]
	v_fma_f64 v[16:17], v[24:25], s[12:13], v[16:17]
	s_delay_alu instid0(VALU_DEP_3) | instskip(NEXT) | instid1(VALU_DEP_3)
	v_fma_f64 v[18:19], v[66:67], s[12:13], v[18:19]
	v_mul_f64 v[84:85], v[12:13], s[8:9]
	v_mul_f64 v[12:13], v[12:13], s[22:23]
	s_delay_alu instid0(VALU_DEP_4) | instskip(SKIP_1) | instid1(VALU_DEP_4)
	v_mul_f64 v[20:21], v[16:17], s[16:17]
	v_mul_f64 v[16:17], v[16:17], s[12:13]
	v_fma_f64 v[84:85], v[14:15], s[22:23], v[84:85]
	s_delay_alu instid0(VALU_DEP_4) | instskip(NEXT) | instid1(VALU_DEP_4)
	v_fma_f64 v[86:87], v[14:15], s[2:3], v[12:13]
	v_fma_f64 v[20:21], v[18:19], s[12:13], v[20:21]
	s_delay_alu instid0(VALU_DEP_4) | instskip(SKIP_4) | instid1(VALU_DEP_4)
	v_fma_f64 v[22:23], v[18:19], s[14:15], v[16:17]
	v_fma_f64 v[16:17], v[124:125], s[14:15], v[96:97]
	;; [unrolled: 1-line block ×6, first 2 shown]
	s_delay_alu instid0(VALU_DEP_4) | instskip(NEXT) | instid1(VALU_DEP_4)
	v_fma_f64 v[18:19], v[126:127], s[2:3], v[18:19]
	v_fma_f64 v[12:13], v[124:125], s[8:9], v[12:13]
	s_delay_alu instid0(VALU_DEP_4) | instskip(NEXT) | instid1(VALU_DEP_4)
	v_fma_f64 v[14:15], v[128:129], s[2:3], v[14:15]
	v_fma_f64 v[68:69], v[26:27], s[12:13], v[16:17]
	;; [unrolled: 3-line block ×3, first 2 shown]
	s_delay_alu instid0(VALU_DEP_4) | instskip(NEXT) | instid1(VALU_DEP_4)
	v_fma_f64 v[132:133], v[104:105], s[12:13], v[14:15]
	v_add_f64 v[16:17], v[68:69], v[20:21]
	v_add_f64 v[20:21], v[68:69], -v[20:21]
	v_fma_f64 v[68:69], v[124:125], s[16:17], v[96:97]
	v_add_f64 v[18:19], v[70:71], v[22:23]
	v_add_f64 v[22:23], v[70:71], -v[22:23]
	v_add_f64 v[12:13], v[130:131], v[84:85]
	v_add_f64 v[14:15], v[132:133], v[86:87]
	v_add_f64 v[84:85], v[130:131], -v[84:85]
	v_add_f64 v[86:87], v[132:133], -v[86:87]
	;; [unrolled: 1-line block ×3, first 2 shown]
	v_fma_f64 v[68:69], v[122:123], s[2:3], v[68:69]
	s_delay_alu instid0(VALU_DEP_1) | instskip(SKIP_2) | instid1(VALU_DEP_2)
	v_fma_f64 v[68:69], v[26:27], s[12:13], v[68:69]
	v_fma_f64 v[26:27], v[128:129], s[14:15], v[100:101]
	v_add_f64 v[100:101], v[52:53], -v[38:39]
	v_fma_f64 v[26:27], v[126:127], s[8:9], v[26:27]
	s_delay_alu instid0(VALU_DEP_1) | instskip(SKIP_1) | instid1(VALU_DEP_1)
	v_fma_f64 v[70:71], v[28:29], s[12:13], v[26:27]
	v_fma_f64 v[26:27], v[116:117], s[14:15], v[30:31]
	;; [unrolled: 1-line block ×3, first 2 shown]
	s_delay_alu instid0(VALU_DEP_1) | instskip(SKIP_2) | instid1(VALU_DEP_3)
	v_fma_f64 v[24:25], v[24:25], s[12:13], v[26:27]
	v_fma_f64 v[26:27], v[120:121], s[16:17], v[64:65]
	v_fma_f64 v[64:65], v[114:115], s[16:17], v[112:113]
	v_mul_f64 v[28:29], v[24:25], s[16:17]
	s_delay_alu instid0(VALU_DEP_3) | instskip(SKIP_1) | instid1(VALU_DEP_4)
	v_fma_f64 v[26:27], v[118:119], s[2:3], v[26:27]
	v_mul_f64 v[24:25], v[24:25], s[18:19]
	v_fma_f64 v[64:65], v[116:117], s[8:9], v[64:65]
	s_delay_alu instid0(VALU_DEP_3) | instskip(SKIP_1) | instid1(VALU_DEP_3)
	v_fma_f64 v[26:27], v[66:67], s[12:13], v[26:27]
	v_fma_f64 v[66:67], v[122:123], s[14:15], v[88:89]
	;; [unrolled: 1-line block ×3, first 2 shown]
	v_add_f64 v[88:89], v[34:35], -v[42:43]
	s_delay_alu instid0(VALU_DEP_4) | instskip(SKIP_2) | instid1(VALU_DEP_3)
	v_fma_f64 v[28:29], v[26:27], s[18:19], v[28:29]
	v_fma_f64 v[30:31], v[26:27], s[14:15], v[24:25]
	v_fma_f64 v[66:67], v[124:125], s[2:3], v[66:67]
	v_add_f64 v[24:25], v[68:69], v[28:29]
	s_delay_alu instid0(VALU_DEP_3)
	v_add_f64 v[26:27], v[70:71], v[30:31]
	v_add_f64 v[28:29], v[68:69], -v[28:29]
	v_add_f64 v[30:31], v[70:71], -v[30:31]
	v_fma_f64 v[68:69], v[126:127], s[16:17], v[98:99]
	v_fma_f64 v[70:71], v[118:119], s[14:15], v[110:111]
	;; [unrolled: 1-line block ×3, first 2 shown]
	v_add_f64 v[98:99], v[58:59], -v[46:47]
	s_delay_alu instid0(VALU_DEP_4) | instskip(NEXT) | instid1(VALU_DEP_4)
	v_fma_f64 v[68:69], v[128:129], s[8:9], v[68:69]
	v_fma_f64 v[70:71], v[120:121], s[2:3], v[70:71]
	s_delay_alu instid0(VALU_DEP_2) | instskip(NEXT) | instid1(VALU_DEP_2)
	v_fma_f64 v[74:75], v[104:105], s[12:13], v[68:69]
	v_fma_f64 v[66:67], v[106:107], s[12:13], v[70:71]
	v_mul_f64 v[68:69], v[64:65], s[8:9]
	v_mul_f64 v[64:65], v[64:65], s[20:21]
	s_delay_alu instid0(VALU_DEP_2) | instskip(NEXT) | instid1(VALU_DEP_2)
	v_fma_f64 v[68:69], v[66:67], s[20:21], v[68:69]
	v_fma_f64 v[70:71], v[66:67], s[2:3], v[64:65]
	s_delay_alu instid0(VALU_DEP_2) | instskip(NEXT) | instid1(VALU_DEP_2)
	v_add_f64 v[64:65], v[72:73], v[68:69]
	v_add_f64 v[66:67], v[74:75], v[70:71]
	v_add_f64 v[68:69], v[72:73], -v[68:69]
	v_add_f64 v[70:71], v[74:75], -v[70:71]
	ds_store_b128 v232, v[4:7]
	ds_store_b128 v232, v[12:15] offset:160
	ds_store_b128 v232, v[16:19] offset:320
	;; [unrolled: 1-line block ×9, first 2 shown]
	v_add_f64 v[4:5], v[52:53], v[38:39]
	v_add_f64 v[6:7], v[78:79], v[62:63]
	v_add_f64 v[86:87], v[56:57], -v[50:51]
	v_add_f64 v[22:23], v[40:41], -v[48:49]
	v_add_f64 v[30:31], v[56:57], v[50:51]
	v_add_f64 v[28:29], v[34:35], -v[56:57]
	v_add_f64 v[20:21], v[54:55], -v[60:61]
	v_fma_f64 v[64:65], v[4:5], -0.5, v[0:1]
	v_add_f64 v[4:5], v[58:59], v[46:47]
	v_add_f64 v[6:7], v[6:7], v[82:83]
	v_fma_f64 v[30:31], v[30:31], -0.5, v[80:81]
	s_delay_alu instid0(VALU_DEP_3) | instskip(SKIP_3) | instid1(VALU_DEP_3)
	v_fma_f64 v[24:25], v[4:5], -0.5, v[0:1]
	v_add_f64 v[4:5], v[54:55], v[40:41]
	v_add_f64 v[0:1], v[0:1], v[58:59]
	v_add_f64 v[6:7], v[6:7], v[36:37]
	v_fma_f64 v[66:67], v[4:5], -0.5, v[2:3]
	v_add_f64 v[4:5], v[60:61], v[48:49]
	s_delay_alu instid0(VALU_DEP_4) | instskip(NEXT) | instid1(VALU_DEP_4)
	v_add_f64 v[0:1], v[0:1], v[52:53]
	v_add_f64 v[6:7], v[6:7], v[44:45]
	s_delay_alu instid0(VALU_DEP_3) | instskip(SKIP_3) | instid1(VALU_DEP_3)
	v_fma_f64 v[26:27], v[4:5], -0.5, v[2:3]
	v_add_f64 v[2:3], v[2:3], v[60:61]
	v_add_f64 v[4:5], v[80:81], v[56:57]
	;; [unrolled: 1-line block ×4, first 2 shown]
	s_delay_alu instid0(VALU_DEP_3) | instskip(NEXT) | instid1(VALU_DEP_3)
	v_add_f64 v[4:5], v[4:5], v[34:35]
	v_add_f64 v[8:9], v[0:1], v[46:47]
	s_delay_alu instid0(VALU_DEP_3) | instskip(NEXT) | instid1(VALU_DEP_3)
	v_add_f64 v[2:3], v[2:3], v[40:41]
	v_add_f64 v[4:5], v[4:5], v[42:43]
	s_delay_alu instid0(VALU_DEP_2) | instskip(NEXT) | instid1(VALU_DEP_2)
	v_add_f64 v[10:11], v[2:3], v[48:49]
	v_add_f64 v[4:5], v[4:5], v[50:51]
	s_delay_alu instid0(VALU_DEP_2) | instskip(NEXT) | instid1(VALU_DEP_2)
	v_add_f64 v[2:3], v[10:11], v[6:7]
	v_add_f64 v[0:1], v[8:9], v[4:5]
	v_add_f64 v[4:5], v[8:9], -v[4:5]
	v_add_f64 v[6:7], v[10:11], -v[6:7]
	;; [unrolled: 1-line block ×4, first 2 shown]
	s_delay_alu instid0(VALU_DEP_1) | instskip(SKIP_3) | instid1(VALU_DEP_2)
	v_add_f64 v[68:69], v[8:9], v[10:11]
	v_add_f64 v[8:9], v[60:61], -v[54:55]
	v_add_f64 v[10:11], v[48:49], -v[40:41]
	v_add_f64 v[40:41], v[62:63], v[44:45]
	v_add_f64 v[70:71], v[8:9], v[10:11]
	v_add_f64 v[8:9], v[56:57], -v[34:35]
	v_add_f64 v[10:11], v[50:51], -v[42:43]
	s_delay_alu instid0(VALU_DEP_4) | instskip(NEXT) | instid1(VALU_DEP_2)
	v_fma_f64 v[40:41], v[40:41], -0.5, v[78:79]
	v_add_f64 v[72:73], v[8:9], v[10:11]
	v_add_f64 v[8:9], v[62:63], -v[82:83]
	v_add_f64 v[10:11], v[44:45], -v[36:37]
	s_delay_alu instid0(VALU_DEP_1) | instskip(SKIP_2) | instid1(VALU_DEP_2)
	v_add_f64 v[74:75], v[8:9], v[10:11]
	v_add_f64 v[8:9], v[34:35], v[42:43]
	v_add_f64 v[34:35], v[42:43], -v[50:51]
	v_fma_f64 v[76:77], v[8:9], -0.5, v[80:81]
	v_add_f64 v[8:9], v[82:83], v[36:37]
	v_add_f64 v[36:37], v[36:37], -v[44:45]
	s_delay_alu instid0(VALU_DEP_4) | instskip(SKIP_3) | instid1(VALU_DEP_2)
	v_add_f64 v[28:29], v[28:29], v[34:35]
	v_add_f64 v[44:45], v[20:21], v[22:23]
	v_fma_f64 v[10:11], v[90:91], s[16:17], v[76:77]
	v_fma_f64 v[84:85], v[8:9], -0.5, v[78:79]
	v_fma_f64 v[10:11], v[92:93], s[8:9], v[10:11]
	s_delay_alu instid0(VALU_DEP_2) | instskip(NEXT) | instid1(VALU_DEP_2)
	v_fma_f64 v[8:9], v[86:87], s[14:15], v[84:85]
	v_fma_f64 v[10:11], v[72:73], s[12:13], v[10:11]
	s_delay_alu instid0(VALU_DEP_2) | instskip(NEXT) | instid1(VALU_DEP_1)
	v_fma_f64 v[8:9], v[88:89], s[2:3], v[8:9]
	v_fma_f64 v[8:9], v[74:75], s[12:13], v[8:9]
	s_delay_alu instid0(VALU_DEP_1) | instskip(SKIP_1) | instid1(VALU_DEP_2)
	v_mul_f64 v[12:13], v[8:9], s[8:9]
	v_mul_f64 v[8:9], v[8:9], s[22:23]
	v_fma_f64 v[12:13], v[10:11], s[22:23], v[12:13]
	s_delay_alu instid0(VALU_DEP_2) | instskip(SKIP_2) | instid1(VALU_DEP_2)
	v_fma_f64 v[14:15], v[10:11], s[2:3], v[8:9]
	v_fma_f64 v[8:9], v[94:95], s[16:17], v[64:65]
	;; [unrolled: 1-line block ×4, first 2 shown]
	s_delay_alu instid0(VALU_DEP_2) | instskip(NEXT) | instid1(VALU_DEP_2)
	v_fma_f64 v[10:11], v[100:101], s[2:3], v[10:11]
	v_fma_f64 v[16:17], v[68:69], s[12:13], v[8:9]
	s_delay_alu instid0(VALU_DEP_2) | instskip(NEXT) | instid1(VALU_DEP_2)
	v_fma_f64 v[18:19], v[70:71], s[12:13], v[10:11]
	v_add_f64 v[8:9], v[16:17], v[12:13]
	s_delay_alu instid0(VALU_DEP_2)
	v_add_f64 v[10:11], v[18:19], v[14:15]
	v_add_f64 v[12:13], v[16:17], -v[12:13]
	v_add_f64 v[14:15], v[18:19], -v[14:15]
	;; [unrolled: 1-line block ×5, first 2 shown]
	s_delay_alu instid0(VALU_DEP_2) | instskip(SKIP_1) | instid1(VALU_DEP_3)
	v_add_f64 v[42:43], v[16:17], v[18:19]
	v_fma_f64 v[16:17], v[88:89], s[16:17], v[40:41]
	v_add_f64 v[34:35], v[38:39], v[36:37]
	v_fma_f64 v[18:19], v[92:93], s[14:15], v[30:31]
	s_delay_alu instid0(VALU_DEP_3) | instskip(NEXT) | instid1(VALU_DEP_2)
	v_fma_f64 v[16:17], v[86:87], s[2:3], v[16:17]
	v_fma_f64 v[18:19], v[90:91], s[8:9], v[18:19]
	s_delay_alu instid0(VALU_DEP_2) | instskip(NEXT) | instid1(VALU_DEP_2)
	v_fma_f64 v[16:17], v[34:35], s[12:13], v[16:17]
	v_fma_f64 v[18:19], v[28:29], s[12:13], v[18:19]
	s_delay_alu instid0(VALU_DEP_2) | instskip(SKIP_1) | instid1(VALU_DEP_2)
	v_mul_f64 v[20:21], v[16:17], s[16:17]
	v_mul_f64 v[16:17], v[16:17], s[12:13]
	v_fma_f64 v[20:21], v[18:19], s[12:13], v[20:21]
	s_delay_alu instid0(VALU_DEP_2) | instskip(SKIP_3) | instid1(VALU_DEP_3)
	v_fma_f64 v[22:23], v[18:19], s[14:15], v[16:17]
	v_fma_f64 v[16:17], v[96:97], s[14:15], v[24:25]
	;; [unrolled: 1-line block ×5, first 2 shown]
	s_delay_alu instid0(VALU_DEP_3) | instskip(NEXT) | instid1(VALU_DEP_3)
	v_fma_f64 v[24:25], v[94:95], s[2:3], v[24:25]
	v_fma_f64 v[18:19], v[98:99], s[2:3], v[18:19]
	s_delay_alu instid0(VALU_DEP_3) | instskip(NEXT) | instid1(VALU_DEP_2)
	v_fma_f64 v[36:37], v[42:43], s[12:13], v[16:17]
	v_fma_f64 v[38:39], v[44:45], s[12:13], v[18:19]
	s_delay_alu instid0(VALU_DEP_2)
	v_add_f64 v[16:17], v[36:37], v[20:21]
	v_add_f64 v[20:21], v[36:37], -v[20:21]
	v_fma_f64 v[36:37], v[42:43], s[12:13], v[24:25]
	v_fma_f64 v[24:25], v[100:101], s[14:15], v[26:27]
	v_add_f64 v[18:19], v[38:39], v[22:23]
	v_add_f64 v[22:23], v[38:39], -v[22:23]
	v_fma_f64 v[26:27], v[92:93], s[16:17], v[30:31]
	s_delay_alu instid0(VALU_DEP_4) | instskip(NEXT) | instid1(VALU_DEP_2)
	v_fma_f64 v[24:25], v[98:99], s[8:9], v[24:25]
	v_fma_f64 v[26:27], v[90:91], s[2:3], v[26:27]
	s_delay_alu instid0(VALU_DEP_2) | instskip(SKIP_2) | instid1(VALU_DEP_4)
	v_fma_f64 v[38:39], v[44:45], s[12:13], v[24:25]
	v_fma_f64 v[24:25], v[88:89], s[14:15], v[40:41]
	v_fma_f64 v[40:41], v[90:91], s[14:15], v[76:77]
	v_fma_f64 v[26:27], v[28:29], s[12:13], v[26:27]
	s_delay_alu instid0(VALU_DEP_3) | instskip(NEXT) | instid1(VALU_DEP_3)
	v_fma_f64 v[24:25], v[86:87], s[8:9], v[24:25]
	v_fma_f64 v[40:41], v[92:93], s[2:3], v[40:41]
	s_delay_alu instid0(VALU_DEP_2) | instskip(SKIP_1) | instid1(VALU_DEP_2)
	v_fma_f64 v[24:25], v[34:35], s[12:13], v[24:25]
	v_fma_f64 v[34:35], v[86:87], s[16:17], v[84:85]
	v_mul_f64 v[28:29], v[24:25], s[16:17]
	v_mul_f64 v[24:25], v[24:25], s[18:19]
	s_delay_alu instid0(VALU_DEP_3) | instskip(NEXT) | instid1(VALU_DEP_3)
	v_fma_f64 v[34:35], v[88:89], s[8:9], v[34:35]
	v_fma_f64 v[28:29], v[26:27], s[18:19], v[28:29]
	s_delay_alu instid0(VALU_DEP_3) | instskip(NEXT) | instid1(VALU_DEP_3)
	v_fma_f64 v[30:31], v[26:27], s[14:15], v[24:25]
	v_fma_f64 v[34:35], v[74:75], s[12:13], v[34:35]
	s_delay_alu instid0(VALU_DEP_3) | instskip(NEXT) | instid1(VALU_DEP_3)
	v_add_f64 v[24:25], v[36:37], v[28:29]
	v_add_f64 v[26:27], v[38:39], v[30:31]
	v_add_f64 v[28:29], v[36:37], -v[28:29]
	v_add_f64 v[30:31], v[38:39], -v[30:31]
	v_fma_f64 v[36:37], v[94:95], s[14:15], v[64:65]
	v_fma_f64 v[38:39], v[98:99], s[16:17], v[66:67]
	s_delay_alu instid0(VALU_DEP_2) | instskip(NEXT) | instid1(VALU_DEP_2)
	v_fma_f64 v[36:37], v[96:97], s[2:3], v[36:37]
	v_fma_f64 v[38:39], v[100:101], s[8:9], v[38:39]
	s_delay_alu instid0(VALU_DEP_2) | instskip(NEXT) | instid1(VALU_DEP_2)
	v_fma_f64 v[42:43], v[68:69], s[12:13], v[36:37]
	v_fma_f64 v[44:45], v[70:71], s[12:13], v[38:39]
	;; [unrolled: 1-line block ×3, first 2 shown]
	v_mul_f64 v[38:39], v[34:35], s[8:9]
	v_mul_f64 v[34:35], v[34:35], s[20:21]
	s_delay_alu instid0(VALU_DEP_2) | instskip(NEXT) | instid1(VALU_DEP_2)
	v_fma_f64 v[38:39], v[36:37], s[20:21], v[38:39]
	v_fma_f64 v[40:41], v[36:37], s[2:3], v[34:35]
	s_mov_b32 s2, 0x789abcdf
	s_mov_b32 s3, 0x3f323456
	s_delay_alu instid0(VALU_DEP_2) | instskip(NEXT) | instid1(VALU_DEP_2)
	v_add_f64 v[34:35], v[42:43], v[38:39]
	v_add_f64 v[36:37], v[44:45], v[40:41]
	v_add_f64 v[38:39], v[42:43], -v[38:39]
	v_add_f64 v[40:41], v[44:45], -v[40:41]
	ds_store_b128 v33, v[0:3]
	ds_store_b128 v33, v[8:11] offset:160
	ds_store_b128 v33, v[16:19] offset:320
	;; [unrolled: 1-line block ×9, first 2 shown]
	s_waitcnt lgkmcnt(0)
	s_barrier
	buffer_gl0_inv
	s_clause 0x1
	scratch_load_b128 v[6:9], off, off offset:920
	scratch_load_b128 v[10:13], off, off offset:1260
	ds_load_b128 v[0:3], v32 offset:9600
	s_clause 0x1
	scratch_load_b128 v[16:19], off, off offset:1276
	scratch_load_b128 v[86:89], off, off offset:1316
	s_waitcnt vmcnt(3) lgkmcnt(0)
	v_mul_f64 v[4:5], v[8:9], v[2:3]
	s_delay_alu instid0(VALU_DEP_1) | instskip(SKIP_1) | instid1(VALU_DEP_1)
	v_fma_f64 v[94:95], v[6:7], v[0:1], v[4:5]
	v_mul_f64 v[0:1], v[8:9], v[0:1]
	v_fma_f64 v[96:97], v[6:7], v[2:3], -v[0:1]
	scratch_load_b128 v[6:9], off, off offset:936 ; 16-byte Folded Reload
	ds_load_b128 v[0:3], v32 offset:19200
	s_waitcnt vmcnt(0) lgkmcnt(0)
	v_mul_f64 v[4:5], v[8:9], v[2:3]
	s_delay_alu instid0(VALU_DEP_1) | instskip(SKIP_1) | instid1(VALU_DEP_1)
	v_fma_f64 v[98:99], v[6:7], v[0:1], v[4:5]
	v_mul_f64 v[0:1], v[8:9], v[0:1]
	v_fma_f64 v[100:101], v[6:7], v[2:3], -v[0:1]
	scratch_load_b128 v[6:9], off, off offset:952 ; 16-byte Folded Reload
	ds_load_b128 v[0:3], v32 offset:28800
	;; [unrolled: 8-line block ×20, first 2 shown]
	s_waitcnt vmcnt(0) lgkmcnt(0)
	v_mul_f64 v[4:5], v[8:9], v[2:3]
	s_delay_alu instid0(VALU_DEP_1) | instskip(SKIP_1) | instid1(VALU_DEP_1)
	v_fma_f64 v[4:5], v[6:7], v[0:1], v[4:5]
	v_mul_f64 v[0:1], v[8:9], v[0:1]
	v_fma_f64 v[8:9], v[6:7], v[2:3], -v[0:1]
	ds_load_b128 v[0:3], v32 offset:26880
	s_waitcnt lgkmcnt(0)
	v_mul_f64 v[6:7], v[12:13], v[2:3]
	s_delay_alu instid0(VALU_DEP_1) | instskip(SKIP_1) | instid1(VALU_DEP_1)
	v_fma_f64 v[6:7], v[10:11], v[0:1], v[6:7]
	v_mul_f64 v[0:1], v[12:13], v[0:1]
	v_fma_f64 v[10:11], v[10:11], v[2:3], -v[0:1]
	ds_load_b128 v[0:3], v32 offset:36480
	s_waitcnt lgkmcnt(0)
	v_mul_f64 v[12:13], v[18:19], v[2:3]
	s_delay_alu instid0(VALU_DEP_1)
	v_fma_f64 v[14:15], v[16:17], v[0:1], v[12:13]
	v_mul_f64 v[0:1], v[18:19], v[0:1]
	scratch_load_b128 v[18:21], off, off offset:1292 ; 16-byte Folded Reload
	v_fma_f64 v[12:13], v[16:17], v[2:3], -v[0:1]
	ds_load_b128 v[0:3], v32 offset:46080
	s_waitcnt vmcnt(0) lgkmcnt(0)
	v_mul_f64 v[16:17], v[20:21], v[2:3]
	s_delay_alu instid0(VALU_DEP_1) | instskip(SKIP_1) | instid1(VALU_DEP_1)
	v_fma_f64 v[16:17], v[18:19], v[0:1], v[16:17]
	v_mul_f64 v[0:1], v[20:21], v[0:1]
	v_fma_f64 v[18:19], v[18:19], v[2:3], -v[0:1]
	ds_load_b128 v[0:3], v32 offset:55680
	s_waitcnt lgkmcnt(0)
	v_mul_f64 v[20:21], v[88:89], v[2:3]
	s_delay_alu instid0(VALU_DEP_1) | instskip(SKIP_1) | instid1(VALU_DEP_1)
	v_fma_f64 v[22:23], v[86:87], v[0:1], v[20:21]
	v_mul_f64 v[0:1], v[88:89], v[0:1]
	v_fma_f64 v[20:21], v[86:87], v[2:3], -v[0:1]
	v_add_f64 v[86:87], v[98:99], v[106:107]
	ds_load_b128 v[0:3], v32
	s_waitcnt lgkmcnt(0)
	v_fma_f64 v[114:115], v[86:87], -0.5, v[0:1]
	v_add_f64 v[86:87], v[100:101], v[108:109]
	v_add_f64 v[0:1], v[0:1], v[98:99]
	s_delay_alu instid0(VALU_DEP_2) | instskip(SKIP_2) | instid1(VALU_DEP_4)
	v_fma_f64 v[116:117], v[86:87], -0.5, v[2:3]
	v_add_f64 v[86:87], v[94:95], v[102:103]
	v_add_f64 v[2:3], v[2:3], v[100:101]
	;; [unrolled: 1-line block ×3, first 2 shown]
	v_add_f64 v[106:107], v[98:99], -v[106:107]
	s_delay_alu instid0(VALU_DEP_4) | instskip(SKIP_3) | instid1(VALU_DEP_3)
	v_add_f64 v[90:91], v[86:87], v[110:111]
	v_add_f64 v[86:87], v[96:97], v[104:105]
	;; [unrolled: 1-line block ×3, first 2 shown]
	v_add_f64 v[108:109], v[100:101], -v[108:109]
	v_add_f64 v[92:93], v[86:87], v[112:113]
	v_add_f64 v[86:87], v[0:1], v[90:91]
	v_add_f64 v[90:91], v[0:1], -v[90:91]
	v_add_f64 v[0:1], v[102:103], v[110:111]
	s_delay_alu instid0(VALU_DEP_4)
	v_add_f64 v[88:89], v[2:3], v[92:93]
	v_add_f64 v[92:93], v[2:3], -v[92:93]
	v_add_f64 v[2:3], v[102:103], -v[110:111]
	v_add_f64 v[102:103], v[104:105], v[112:113]
	v_add_f64 v[104:105], v[104:105], -v[112:113]
	v_fma_f64 v[0:1], v[0:1], -0.5, v[94:95]
	v_fma_f64 v[112:113], v[106:107], s[26:27], v[116:117]
	s_delay_alu instid0(VALU_DEP_4) | instskip(NEXT) | instid1(VALU_DEP_3)
	v_fma_f64 v[102:103], v[102:103], -0.5, v[96:97]
	v_fma_f64 v[98:99], v[104:105], s[28:29], v[0:1]
	v_fma_f64 v[0:1], v[104:105], s[26:27], v[0:1]
	s_delay_alu instid0(VALU_DEP_3) | instskip(SKIP_1) | instid1(VALU_DEP_2)
	v_fma_f64 v[94:95], v[2:3], s[26:27], v[102:103]
	v_fma_f64 v[2:3], v[2:3], s[28:29], v[102:103]
	v_mul_f64 v[96:97], v[94:95], s[28:29]
	v_mul_f64 v[94:95], v[94:95], 0.5
	s_delay_alu instid0(VALU_DEP_3) | instskip(SKIP_1) | instid1(VALU_DEP_4)
	v_mul_f64 v[102:103], v[2:3], s[28:29]
	v_mul_f64 v[2:3], v[2:3], -0.5
	v_fma_f64 v[100:101], v[98:99], 0.5, v[96:97]
	s_delay_alu instid0(VALU_DEP_4) | instskip(SKIP_2) | instid1(VALU_DEP_3)
	v_fma_f64 v[110:111], v[98:99], s[26:27], v[94:95]
	v_fma_f64 v[98:99], v[108:109], s[28:29], v[114:115]
	;; [unrolled: 1-line block ×3, first 2 shown]
	v_add_f64 v[96:97], v[112:113], v[110:111]
	s_delay_alu instid0(VALU_DEP_3)
	v_add_f64 v[94:95], v[98:99], v[100:101]
	v_add_f64 v[98:99], v[98:99], -v[100:101]
	v_add_f64 v[100:101], v[112:113], -v[110:111]
	v_fma_f64 v[110:111], v[106:107], s[28:29], v[116:117]
	v_fma_f64 v[106:107], v[0:1], -0.5, v[102:103]
	v_fma_f64 v[0:1], v[0:1], s[26:27], v[2:3]
	s_delay_alu instid0(VALU_DEP_2) | instskip(NEXT) | instid1(VALU_DEP_2)
	v_add_f64 v[102:103], v[108:109], v[106:107]
	v_add_f64 v[104:105], v[110:111], v[0:1]
	v_add_f64 v[106:107], v[108:109], -v[106:107]
	v_add_f64 v[108:109], v[110:111], -v[0:1]
	ds_load_b128 v[0:3], v32 offset:7680
	ds_load_b128 v[110:113], v32 offset:1920
	;; [unrolled: 1-line block ×4, first 2 shown]
	s_waitcnt lgkmcnt(0)
	s_barrier
	buffer_gl0_inv
	scratch_load_b32 v33, off, off offset:1416 ; 4-byte Folded Reload
	s_waitcnt vmcnt(0)
	ds_store_b128 v33, v[86:89]
	ds_store_b128 v33, v[90:93] offset:4800
	ds_store_b128 v33, v[94:97] offset:1600
	;; [unrolled: 1-line block ×5, first 2 shown]
	v_add_f64 v[86:87], v[68:69], v[76:77]
	v_add_f64 v[88:89], v[112:113], v[70:71]
	s_delay_alu instid0(VALU_DEP_2) | instskip(SKIP_1) | instid1(VALU_DEP_3)
	v_fma_f64 v[94:95], v[86:87], -0.5, v[110:111]
	v_add_f64 v[86:87], v[70:71], v[78:79]
	v_add_f64 v[92:93], v[88:89], v[78:79]
	v_add_f64 v[78:79], v[70:71], -v[78:79]
	s_delay_alu instid0(VALU_DEP_3) | instskip(SKIP_1) | instid1(VALU_DEP_1)
	v_fma_f64 v[96:97], v[86:87], -0.5, v[112:113]
	v_add_f64 v[86:87], v[110:111], v[68:69]
	v_add_f64 v[90:91], v[86:87], v[76:77]
	;; [unrolled: 1-line block ×3, first 2 shown]
	v_add_f64 v[76:77], v[68:69], -v[76:77]
	s_delay_alu instid0(VALU_DEP_2) | instskip(SKIP_1) | instid1(VALU_DEP_1)
	v_add_f64 v[98:99], v[86:87], v[82:83]
	v_add_f64 v[86:87], v[66:67], v[72:73]
	;; [unrolled: 1-line block ×3, first 2 shown]
	s_delay_alu instid0(VALU_DEP_3)
	v_add_f64 v[86:87], v[90:91], v[98:99]
	v_add_f64 v[90:91], v[90:91], -v[98:99]
	v_add_f64 v[98:99], v[74:75], v[82:83]
	v_add_f64 v[74:75], v[74:75], -v[82:83]
	;; [unrolled: 2-line block ×4, first 2 shown]
	v_fma_f64 v[100:101], v[76:77], s[26:27], v[96:97]
	v_fma_f64 v[80:81], v[98:99], -0.5, v[64:65]
	v_fma_f64 v[82:83], v[82:83], -0.5, v[66:67]
	s_delay_alu instid0(VALU_DEP_2) | instskip(SKIP_1) | instid1(VALU_DEP_3)
	v_fma_f64 v[68:69], v[72:73], s[28:29], v[80:81]
	v_fma_f64 v[72:73], v[72:73], s[26:27], v[80:81]
	;; [unrolled: 1-line block ×5, first 2 shown]
	s_delay_alu instid0(VALU_DEP_3) | instskip(SKIP_1) | instid1(VALU_DEP_4)
	v_mul_f64 v[66:67], v[64:65], s[28:29]
	v_mul_f64 v[64:65], v[64:65], 0.5
	v_mul_f64 v[76:77], v[74:75], s[28:29]
	v_mul_f64 v[74:75], v[74:75], -0.5
	s_delay_alu instid0(VALU_DEP_4) | instskip(NEXT) | instid1(VALU_DEP_4)
	v_fma_f64 v[70:71], v[68:69], 0.5, v[66:67]
	v_fma_f64 v[98:99], v[68:69], s[26:27], v[64:65]
	v_fma_f64 v[68:69], v[78:79], s[28:29], v[94:95]
	;; [unrolled: 1-line block ×3, first 2 shown]
	v_fma_f64 v[76:77], v[72:73], -0.5, v[76:77]
	v_fma_f64 v[80:81], v[72:73], s[26:27], v[74:75]
	v_add_f64 v[66:67], v[100:101], v[98:99]
	v_add_f64 v[64:65], v[68:69], v[70:71]
	v_add_f64 v[68:69], v[68:69], -v[70:71]
	v_add_f64 v[72:73], v[78:79], v[76:77]
	v_add_f64 v[74:75], v[82:83], v[80:81]
	v_add_f64 v[70:71], v[100:101], -v[98:99]
	v_add_f64 v[76:77], v[78:79], -v[76:77]
	v_add_f64 v[78:79], v[82:83], -v[80:81]
	ds_store_b128 v213, v[86:89]
	ds_store_b128 v213, v[64:67] offset:1600
	ds_store_b128 v213, v[72:75] offset:3200
	;; [unrolled: 1-line block ×5, first 2 shown]
	v_add_f64 v[64:65], v[48:49], v[56:57]
	v_add_f64 v[66:67], v[116:117], v[50:51]
	s_delay_alu instid0(VALU_DEP_2) | instskip(SKIP_1) | instid1(VALU_DEP_3)
	v_fma_f64 v[72:73], v[64:65], -0.5, v[114:115]
	v_add_f64 v[64:65], v[50:51], v[58:59]
	v_add_f64 v[70:71], v[66:67], v[58:59]
	v_add_f64 v[58:59], v[50:51], -v[58:59]
	s_delay_alu instid0(VALU_DEP_3) | instskip(SKIP_1) | instid1(VALU_DEP_1)
	v_fma_f64 v[74:75], v[64:65], -0.5, v[116:117]
	v_add_f64 v[64:65], v[114:115], v[48:49]
	v_add_f64 v[68:69], v[64:65], v[56:57]
	;; [unrolled: 1-line block ×3, first 2 shown]
	v_add_f64 v[56:57], v[48:49], -v[56:57]
	s_delay_alu instid0(VALU_DEP_2) | instskip(SKIP_1) | instid1(VALU_DEP_1)
	v_add_f64 v[76:77], v[64:65], v[62:63]
	v_add_f64 v[64:65], v[46:47], v[52:53]
	;; [unrolled: 1-line block ×3, first 2 shown]
	s_delay_alu instid0(VALU_DEP_3)
	v_add_f64 v[64:65], v[68:69], v[76:77]
	v_add_f64 v[68:69], v[68:69], -v[76:77]
	v_add_f64 v[76:77], v[54:55], v[62:63]
	v_add_f64 v[54:55], v[54:55], -v[62:63]
	;; [unrolled: 2-line block ×4, first 2 shown]
	v_fma_f64 v[78:79], v[56:57], s[26:27], v[74:75]
	v_fma_f64 v[60:61], v[76:77], -0.5, v[44:45]
	v_fma_f64 v[62:63], v[62:63], -0.5, v[46:47]
	s_delay_alu instid0(VALU_DEP_2) | instskip(SKIP_1) | instid1(VALU_DEP_3)
	v_fma_f64 v[48:49], v[52:53], s[28:29], v[60:61]
	v_fma_f64 v[52:53], v[52:53], s[26:27], v[60:61]
	;; [unrolled: 1-line block ×5, first 2 shown]
	s_delay_alu instid0(VALU_DEP_3) | instskip(SKIP_1) | instid1(VALU_DEP_4)
	v_mul_f64 v[46:47], v[44:45], s[28:29]
	v_mul_f64 v[44:45], v[44:45], 0.5
	v_mul_f64 v[56:57], v[54:55], s[28:29]
	v_mul_f64 v[54:55], v[54:55], -0.5
	s_delay_alu instid0(VALU_DEP_4) | instskip(NEXT) | instid1(VALU_DEP_4)
	v_fma_f64 v[50:51], v[48:49], 0.5, v[46:47]
	v_fma_f64 v[76:77], v[48:49], s[26:27], v[44:45]
	v_fma_f64 v[48:49], v[58:59], s[28:29], v[72:73]
	;; [unrolled: 1-line block ×3, first 2 shown]
	v_fma_f64 v[56:57], v[52:53], -0.5, v[56:57]
	v_fma_f64 v[60:61], v[52:53], s[26:27], v[54:55]
	v_add_f64 v[46:47], v[78:79], v[76:77]
	v_add_f64 v[44:45], v[48:49], v[50:51]
	v_add_f64 v[48:49], v[48:49], -v[50:51]
	v_add_f64 v[52:53], v[58:59], v[56:57]
	v_add_f64 v[54:55], v[62:63], v[60:61]
	v_add_f64 v[50:51], v[78:79], -v[76:77]
	v_add_f64 v[56:57], v[58:59], -v[56:57]
	;; [unrolled: 1-line block ×3, first 2 shown]
	ds_store_b128 v214, v[64:67]
	ds_store_b128 v214, v[44:47] offset:1600
	ds_store_b128 v214, v[52:55] offset:3200
	;; [unrolled: 1-line block ×5, first 2 shown]
	v_add_f64 v[44:45], v[28:29], v[36:37]
	scratch_load_b32 v213, off, off offset:1396 ; 4-byte Folded Reload
	v_add_f64 v[46:47], v[120:121], v[30:31]
	v_fma_f64 v[52:53], v[44:45], -0.5, v[118:119]
	v_add_f64 v[44:45], v[30:31], v[38:39]
	s_delay_alu instid0(VALU_DEP_3) | instskip(SKIP_1) | instid1(VALU_DEP_3)
	v_add_f64 v[50:51], v[46:47], v[38:39]
	v_add_f64 v[38:39], v[30:31], -v[38:39]
	v_fma_f64 v[54:55], v[44:45], -0.5, v[120:121]
	v_add_f64 v[44:45], v[118:119], v[28:29]
	s_delay_alu instid0(VALU_DEP_1) | instskip(SKIP_1) | instid1(VALU_DEP_1)
	v_add_f64 v[48:49], v[44:45], v[36:37]
	v_add_f64 v[44:45], v[24:25], v[34:35]
	;; [unrolled: 1-line block ×4, first 2 shown]
	s_delay_alu instid0(VALU_DEP_1) | instskip(NEXT) | instid1(VALU_DEP_3)
	v_add_f64 v[58:59], v[44:45], v[40:41]
	v_add_f64 v[44:45], v[48:49], v[56:57]
	v_add_f64 v[48:49], v[48:49], -v[56:57]
	v_add_f64 v[56:57], v[34:35], v[42:43]
	v_add_f64 v[33:34], v[34:35], -v[42:43]
	;; [unrolled: 2-line block ×3, first 2 shown]
	v_add_f64 v[35:36], v[28:29], -v[36:37]
	v_add_f64 v[46:47], v[50:51], v[58:59]
	v_add_f64 v[50:51], v[50:51], -v[58:59]
	v_fma_f64 v[56:57], v[56:57], -0.5, v[24:25]
	v_fma_f64 v[42:43], v[42:43], -0.5, v[26:27]
	v_fma_f64 v[60:61], v[35:36], s[26:27], v[54:55]
	s_delay_alu instid0(VALU_DEP_3) | instskip(NEXT) | instid1(VALU_DEP_3)
	v_fma_f64 v[28:29], v[40:41], s[28:29], v[56:57]
	v_fma_f64 v[24:25], v[33:34], s[26:27], v[42:43]
	;; [unrolled: 1-line block ×5, first 2 shown]
	s_delay_alu instid0(VALU_DEP_4) | instskip(SKIP_1) | instid1(VALU_DEP_2)
	v_mul_f64 v[26:27], v[24:25], s[28:29]
	v_mul_f64 v[24:25], v[24:25], 0.5
	v_fma_f64 v[30:31], v[28:29], 0.5, v[26:27]
	s_delay_alu instid0(VALU_DEP_2)
	v_fma_f64 v[58:59], v[28:29], s[26:27], v[24:25]
	v_fma_f64 v[28:29], v[38:39], s[28:29], v[52:53]
	;; [unrolled: 1-line block ×3, first 2 shown]
	v_mul_f64 v[39:40], v[33:34], s[28:29]
	v_mul_f64 v[33:34], v[33:34], -0.5
	v_add_f64 v[26:27], v[60:61], v[58:59]
	v_add_f64 v[24:25], v[28:29], v[30:31]
	v_add_f64 v[28:29], v[28:29], -v[30:31]
	v_fma_f64 v[39:40], v[35:36], -0.5, v[39:40]
	v_fma_f64 v[52:53], v[35:36], s[26:27], v[33:34]
	v_add_f64 v[30:31], v[60:61], -v[58:59]
	s_delay_alu instid0(VALU_DEP_3) | instskip(NEXT) | instid1(VALU_DEP_3)
	v_add_f64 v[33:34], v[37:38], v[39:40]
	v_add_f64 v[35:36], v[42:43], v[52:53]
	v_add_f64 v[37:38], v[37:38], -v[39:40]
	v_add_f64 v[39:40], v[42:43], -v[52:53]
	s_waitcnt vmcnt(0)
	ds_store_b128 v213, v[44:47]
	ds_store_b128 v213, v[24:27] offset:1600
	ds_store_b128 v213, v[33:36] offset:3200
	;; [unrolled: 1-line block ×5, first 2 shown]
	v_add_f64 v[24:25], v[6:7], v[16:17]
	s_delay_alu instid0(VALU_DEP_1) | instskip(SKIP_2) | instid1(VALU_DEP_2)
	v_fma_f64 v[28:29], v[24:25], -0.5, v[0:1]
	v_add_f64 v[24:25], v[10:11], v[18:19]
	v_add_f64 v[0:1], v[0:1], v[6:7]
	v_fma_f64 v[30:31], v[24:25], -0.5, v[2:3]
	s_delay_alu instid0(VALU_DEP_2) | instskip(SKIP_3) | instid1(VALU_DEP_3)
	v_add_f64 v[24:25], v[0:1], v[16:17]
	v_add_f64 v[0:1], v[4:5], v[14:15]
	;; [unrolled: 1-line block ×3, first 2 shown]
	v_add_f64 v[16:17], v[6:7], -v[16:17]
	v_add_f64 v[33:34], v[0:1], v[22:23]
	v_add_f64 v[0:1], v[8:9], v[12:13]
	s_delay_alu instid0(VALU_DEP_4) | instskip(SKIP_1) | instid1(VALU_DEP_3)
	v_add_f64 v[26:27], v[2:3], v[18:19]
	v_add_f64 v[18:19], v[10:11], -v[18:19]
	v_add_f64 v[35:36], v[0:1], v[20:21]
	v_add_f64 v[0:1], v[24:25], v[33:34]
	v_add_f64 v[24:25], v[24:25], -v[33:34]
	v_add_f64 v[33:34], v[12:13], v[20:21]
	v_add_f64 v[12:13], v[12:13], -v[20:21]
	;; [unrolled: 2-line block ×3, first 2 shown]
	v_fma_f64 v[35:36], v[16:17], s[26:27], v[30:31]
	v_fma_f64 v[33:34], v[33:34], -0.5, v[8:9]
	v_add_f64 v[8:9], v[14:15], v[22:23]
	v_add_f64 v[14:15], v[14:15], -v[22:23]
	s_delay_alu instid0(VALU_DEP_2) | instskip(NEXT) | instid1(VALU_DEP_2)
	v_fma_f64 v[22:23], v[8:9], -0.5, v[4:5]
	v_fma_f64 v[4:5], v[14:15], s[26:27], v[33:34]
	v_fma_f64 v[14:15], v[14:15], s[28:29], v[33:34]
	s_delay_alu instid0(VALU_DEP_3) | instskip(NEXT) | instid1(VALU_DEP_3)
	v_fma_f64 v[8:9], v[12:13], s[28:29], v[22:23]
	v_mul_f64 v[6:7], v[4:5], s[28:29]
	v_mul_f64 v[4:5], v[4:5], 0.5
	v_fma_f64 v[12:13], v[12:13], s[26:27], v[22:23]
	s_delay_alu instid0(VALU_DEP_3) | instskip(NEXT) | instid1(VALU_DEP_3)
	v_fma_f64 v[10:11], v[8:9], 0.5, v[6:7]
	v_fma_f64 v[20:21], v[8:9], s[26:27], v[4:5]
	v_fma_f64 v[8:9], v[18:19], s[28:29], v[28:29]
	;; [unrolled: 1-line block ×3, first 2 shown]
	s_delay_alu instid0(VALU_DEP_3) | instskip(NEXT) | instid1(VALU_DEP_3)
	v_add_f64 v[6:7], v[35:36], v[20:21]
	v_add_f64 v[4:5], v[8:9], v[10:11]
	v_add_f64 v[8:9], v[8:9], -v[10:11]
	v_add_f64 v[10:11], v[35:36], -v[20:21]
	v_fma_f64 v[20:21], v[16:17], s[28:29], v[30:31]
	v_mul_f64 v[16:17], v[14:15], s[28:29]
	v_mul_f64 v[14:15], v[14:15], -0.5
	s_delay_alu instid0(VALU_DEP_2) | instskip(NEXT) | instid1(VALU_DEP_2)
	v_fma_f64 v[16:17], v[12:13], -0.5, v[16:17]
	v_fma_f64 v[22:23], v[12:13], s[26:27], v[14:15]
	s_delay_alu instid0(VALU_DEP_2) | instskip(NEXT) | instid1(VALU_DEP_2)
	v_add_f64 v[12:13], v[18:19], v[16:17]
	v_add_f64 v[14:15], v[20:21], v[22:23]
	v_add_f64 v[16:17], v[18:19], -v[16:17]
	v_add_f64 v[18:19], v[20:21], -v[22:23]
	ds_store_b128 v215, v[0:3]
	ds_store_b128 v215, v[4:7] offset:1600
	ds_store_b128 v215, v[12:15] offset:3200
	;; [unrolled: 1-line block ×5, first 2 shown]
	s_waitcnt lgkmcnt(0)
	s_barrier
	buffer_gl0_inv
	scratch_load_b128 v[6:9], off, off offset:1380 ; 16-byte Folded Reload
	ds_load_b128 v[0:3], v32 offset:9600
	s_waitcnt vmcnt(0) lgkmcnt(0)
	v_mul_f64 v[4:5], v[8:9], v[2:3]
	s_delay_alu instid0(VALU_DEP_1) | instskip(SKIP_1) | instid1(VALU_DEP_1)
	v_fma_f64 v[78:79], v[6:7], v[0:1], v[4:5]
	v_mul_f64 v[0:1], v[8:9], v[0:1]
	v_fma_f64 v[80:81], v[6:7], v[2:3], -v[0:1]
	scratch_load_b128 v[6:9], off, off offset:1364 ; 16-byte Folded Reload
	ds_load_b128 v[0:3], v32 offset:19200
	s_waitcnt vmcnt(0) lgkmcnt(0)
	v_mul_f64 v[4:5], v[8:9], v[2:3]
	s_delay_alu instid0(VALU_DEP_1) | instskip(SKIP_1) | instid1(VALU_DEP_1)
	v_fma_f64 v[82:83], v[6:7], v[0:1], v[4:5]
	v_mul_f64 v[0:1], v[8:9], v[0:1]
	v_fma_f64 v[84:85], v[6:7], v[2:3], -v[0:1]
	;; [unrolled: 8-line block ×4, first 2 shown]
	scratch_load_b128 v[6:9], off, off offset:1400 ; 16-byte Folded Reload
	ds_load_b128 v[0:3], v32 offset:48000
	s_waitcnt lgkmcnt(0)
	v_mul_f64 v[4:5], v[254:255], v[2:3]
	s_delay_alu instid0(VALU_DEP_1) | instskip(SKIP_1) | instid1(VALU_DEP_1)
	v_fma_f64 v[94:95], v[252:253], v[0:1], v[4:5]
	v_mul_f64 v[0:1], v[254:255], v[0:1]
	v_fma_f64 v[96:97], v[252:253], v[2:3], -v[0:1]
	ds_load_b128 v[0:3], v32 offset:11520
	s_waitcnt lgkmcnt(0)
	v_mul_f64 v[4:5], v[249:250], v[2:3]
	s_delay_alu instid0(VALU_DEP_1) | instskip(SKIP_1) | instid1(VALU_DEP_1)
	v_fma_f64 v[98:99], v[247:248], v[0:1], v[4:5]
	v_mul_f64 v[0:1], v[249:250], v[0:1]
	v_fma_f64 v[100:101], v[247:248], v[2:3], -v[0:1]
	;; [unrolled: 7-line block ×3, first 2 shown]
	ds_load_b128 v[0:3], v32 offset:30720
	s_waitcnt vmcnt(0) lgkmcnt(0)
	v_mul_f64 v[4:5], v[8:9], v[2:3]
	s_delay_alu instid0(VALU_DEP_1) | instskip(SKIP_1) | instid1(VALU_DEP_1)
	v_fma_f64 v[106:107], v[6:7], v[0:1], v[4:5]
	v_mul_f64 v[0:1], v[8:9], v[0:1]
	v_fma_f64 v[108:109], v[6:7], v[2:3], -v[0:1]
	ds_load_b128 v[0:3], v32 offset:40320
	v_add_f64 v[6:7], v[80:81], v[88:89]
	s_waitcnt lgkmcnt(0)
	v_mul_f64 v[4:5], v[235:236], v[2:3]
	s_delay_alu instid0(VALU_DEP_2) | instskip(NEXT) | instid1(VALU_DEP_2)
	v_add_f64 v[6:7], v[6:7], v[96:97]
	v_fma_f64 v[110:111], v[233:234], v[0:1], v[4:5]
	v_mul_f64 v[0:1], v[235:236], v[0:1]
	s_delay_alu instid0(VALU_DEP_1) | instskip(SKIP_3) | instid1(VALU_DEP_1)
	v_fma_f64 v[112:113], v[233:234], v[2:3], -v[0:1]
	ds_load_b128 v[0:3], v32 offset:49920
	s_waitcnt lgkmcnt(0)
	v_mul_f64 v[4:5], v[241:242], v[2:3]
	v_fma_f64 v[114:115], v[239:240], v[0:1], v[4:5]
	v_mul_f64 v[0:1], v[241:242], v[0:1]
	s_delay_alu instid0(VALU_DEP_1) | instskip(SKIP_3) | instid1(VALU_DEP_1)
	v_fma_f64 v[116:117], v[239:240], v[2:3], -v[0:1]
	ds_load_b128 v[0:3], v32 offset:13440
	s_waitcnt lgkmcnt(0)
	v_mul_f64 v[4:5], v[226:227], v[2:3]
	;; [unrolled: 7-line block ×16, first 2 shown]
	v_fma_f64 v[74:75], v[204:205], v[0:1], v[4:5]
	v_mul_f64 v[0:1], v[206:207], v[0:1]
	v_add_f64 v[4:5], v[82:83], v[90:91]
	s_delay_alu instid0(VALU_DEP_2)
	v_fma_f64 v[72:73], v[204:205], v[2:3], -v[0:1]
	ds_load_b128 v[0:3], v32
	s_waitcnt lgkmcnt(0)
	v_fma_f64 v[118:119], v[4:5], -0.5, v[0:1]
	v_add_f64 v[4:5], v[84:85], v[92:93]
	v_add_f64 v[0:1], v[0:1], v[82:83]
	s_delay_alu instid0(VALU_DEP_2) | instskip(SKIP_2) | instid1(VALU_DEP_4)
	v_fma_f64 v[120:121], v[4:5], -0.5, v[2:3]
	v_add_f64 v[4:5], v[78:79], v[86:87]
	v_add_f64 v[2:3], v[2:3], v[84:85]
	v_add_f64 v[0:1], v[0:1], v[90:91]
	v_add_f64 v[90:91], v[82:83], -v[90:91]
	s_delay_alu instid0(VALU_DEP_4) | instskip(NEXT) | instid1(VALU_DEP_4)
	v_add_f64 v[4:5], v[4:5], v[94:95]
	v_add_f64 v[2:3], v[2:3], v[92:93]
	v_add_f64 v[92:93], v[84:85], -v[92:93]
	s_delay_alu instid0(VALU_DEP_3)
	v_add_f64 v[12:13], v[0:1], v[4:5]
	v_add_f64 v[8:9], v[0:1], -v[4:5]
	v_add_f64 v[4:5], v[102:103], v[110:111]
	v_add_f64 v[14:15], v[2:3], v[6:7]
	v_add_f64 v[10:11], v[2:3], -v[6:7]
	ds_load_b128 v[0:3], v32 offset:1920
	s_waitcnt lgkmcnt(0)
	v_fma_f64 v[122:123], v[4:5], -0.5, v[0:1]
	v_add_f64 v[4:5], v[104:105], v[112:113]
	v_add_f64 v[0:1], v[0:1], v[102:103]
	v_add_f64 v[102:103], v[102:103], -v[110:111]
	s_delay_alu instid0(VALU_DEP_3) | instskip(SKIP_1) | instid1(VALU_DEP_4)
	v_fma_f64 v[124:125], v[4:5], -0.5, v[2:3]
	v_add_f64 v[4:5], v[98:99], v[106:107]
	v_add_f64 v[0:1], v[0:1], v[110:111]
	;; [unrolled: 1-line block ×3, first 2 shown]
	v_add_f64 v[104:105], v[104:105], -v[112:113]
	s_delay_alu instid0(VALU_DEP_4) | instskip(SKIP_1) | instid1(VALU_DEP_4)
	v_add_f64 v[126:127], v[4:5], v[114:115]
	v_add_f64 v[4:5], v[100:101], v[108:109]
	;; [unrolled: 1-line block ×3, first 2 shown]
	s_delay_alu instid0(VALU_DEP_2) | instskip(NEXT) | instid1(VALU_DEP_4)
	v_add_f64 v[128:129], v[4:5], v[116:117]
	v_add_f64 v[4:5], v[0:1], v[126:127]
	v_add_f64 v[0:1], v[0:1], -v[126:127]
	v_add_f64 v[126:127], v[88:89], v[96:97]
	v_add_f64 v[88:89], v[88:89], -v[96:97]
	;; [unrolled: 2-line block ×3, first 2 shown]
	v_fma_f64 v[128:129], v[90:91], s[26:27], v[120:121]
	v_fma_f64 v[126:127], v[126:127], -0.5, v[80:81]
	v_add_f64 v[80:81], v[86:87], v[94:95]
	v_add_f64 v[86:87], v[86:87], -v[94:95]
	s_delay_alu instid0(VALU_DEP_2) | instskip(NEXT) | instid1(VALU_DEP_2)
	v_fma_f64 v[94:95], v[80:81], -0.5, v[78:79]
	v_fma_f64 v[78:79], v[86:87], s[26:27], v[126:127]
	v_fma_f64 v[86:87], v[86:87], s[28:29], v[126:127]
	s_delay_alu instid0(VALU_DEP_3) | instskip(NEXT) | instid1(VALU_DEP_3)
	v_fma_f64 v[82:83], v[88:89], s[28:29], v[94:95]
	v_mul_f64 v[80:81], v[78:79], s[28:29]
	v_mul_f64 v[78:79], v[78:79], 0.5
	v_fma_f64 v[88:89], v[88:89], s[26:27], v[94:95]
	v_fma_f64 v[94:95], v[90:91], s[28:29], v[120:121]
	v_mul_f64 v[90:91], v[86:87], s[28:29]
	v_mul_f64 v[86:87], v[86:87], -0.5
	v_fma_f64 v[84:85], v[82:83], 0.5, v[80:81]
	v_fma_f64 v[96:97], v[82:83], s[26:27], v[78:79]
	v_fma_f64 v[82:83], v[92:93], s[28:29], v[118:119]
	v_fma_f64 v[92:93], v[92:93], s[26:27], v[118:119]
	v_fma_f64 v[90:91], v[88:89], -0.5, v[90:91]
	s_delay_alu instid0(VALU_DEP_4) | instskip(NEXT) | instid1(VALU_DEP_4)
	v_add_f64 v[80:81], v[128:129], v[96:97]
	v_add_f64 v[78:79], v[82:83], v[84:85]
	v_add_f64 v[82:83], v[82:83], -v[84:85]
	v_add_f64 v[84:85], v[128:129], -v[96:97]
	v_fma_f64 v[96:97], v[88:89], s[26:27], v[86:87]
	v_add_f64 v[86:87], v[92:93], v[90:91]
	v_add_f64 v[90:91], v[92:93], -v[90:91]
	s_delay_alu instid0(VALU_DEP_3)
	v_add_f64 v[88:89], v[94:95], v[96:97]
	v_add_f64 v[92:93], v[94:95], -v[96:97]
	v_add_f64 v[96:97], v[108:109], v[116:117]
	v_add_f64 v[94:95], v[106:107], v[114:115]
	v_add_f64 v[106:107], v[106:107], -v[114:115]
	v_add_f64 v[108:109], v[108:109], -v[116:117]
	v_fma_f64 v[116:117], v[102:103], s[26:27], v[124:125]
	v_fma_f64 v[114:115], v[96:97], -0.5, v[100:101]
	v_fma_f64 v[110:111], v[94:95], -0.5, v[98:99]
	s_delay_alu instid0(VALU_DEP_2) | instskip(NEXT) | instid1(VALU_DEP_2)
	v_fma_f64 v[94:95], v[106:107], s[26:27], v[114:115]
	v_fma_f64 v[98:99], v[108:109], s[28:29], v[110:111]
	;; [unrolled: 1-line block ×5, first 2 shown]
	v_mul_f64 v[96:97], v[94:95], s[28:29]
	v_mul_f64 v[94:95], v[94:95], 0.5
	s_delay_alu instid0(VALU_DEP_2) | instskip(NEXT) | instid1(VALU_DEP_2)
	v_fma_f64 v[100:101], v[98:99], 0.5, v[96:97]
	v_fma_f64 v[112:113], v[98:99], s[26:27], v[94:95]
	v_fma_f64 v[98:99], v[104:105], s[28:29], v[122:123]
	s_delay_alu instid0(VALU_DEP_2) | instskip(NEXT) | instid1(VALU_DEP_2)
	v_add_f64 v[96:97], v[116:117], v[112:113]
	v_add_f64 v[94:95], v[98:99], v[100:101]
	v_add_f64 v[98:99], v[98:99], -v[100:101]
	v_add_f64 v[100:101], v[116:117], -v[112:113]
	v_fma_f64 v[112:113], v[104:105], s[26:27], v[122:123]
	v_mul_f64 v[104:105], v[106:107], s[28:29]
	v_mul_f64 v[106:107], v[106:107], -0.5
	s_delay_alu instid0(VALU_DEP_2) | instskip(NEXT) | instid1(VALU_DEP_2)
	v_fma_f64 v[108:109], v[102:103], -0.5, v[104:105]
	v_fma_f64 v[110:111], v[102:103], s[26:27], v[106:107]
	s_delay_alu instid0(VALU_DEP_2) | instskip(NEXT) | instid1(VALU_DEP_2)
	v_add_f64 v[102:103], v[112:113], v[108:109]
	v_add_f64 v[104:105], v[114:115], v[110:111]
	v_add_f64 v[106:107], v[112:113], -v[108:109]
	v_add_f64 v[108:109], v[114:115], -v[110:111]
	v_add_f64 v[114:115], v[56:57], v[64:65]
	ds_load_b128 v[110:113], v32 offset:3840
	s_waitcnt lgkmcnt(0)
	v_fma_f64 v[118:119], v[114:115], -0.5, v[110:111]
	v_add_f64 v[114:115], v[58:59], v[66:67]
	v_add_f64 v[110:111], v[110:111], v[56:57]
	s_delay_alu instid0(VALU_DEP_2) | instskip(NEXT) | instid1(VALU_DEP_2)
	v_fma_f64 v[120:121], v[114:115], -0.5, v[112:113]
	v_add_f64 v[114:115], v[110:111], v[64:65]
	v_add_f64 v[110:111], v[46:47], v[62:63]
	v_add_f64 v[112:113], v[112:113], v[58:59]
	v_add_f64 v[64:65], v[56:57], -v[64:65]
	s_delay_alu instid0(VALU_DEP_3) | instskip(SKIP_1) | instid1(VALU_DEP_4)
	v_add_f64 v[122:123], v[110:111], v[70:71]
	v_add_f64 v[110:111], v[54:55], v[60:61]
	;; [unrolled: 1-line block ×3, first 2 shown]
	v_add_f64 v[66:67], v[58:59], -v[66:67]
	s_delay_alu instid0(VALU_DEP_3)
	v_add_f64 v[124:125], v[110:111], v[68:69]
	v_add_f64 v[110:111], v[114:115], v[122:123]
	v_add_f64 v[114:115], v[114:115], -v[122:123]
	v_add_f64 v[122:123], v[60:61], v[68:69]
	v_add_f64 v[68:69], v[60:61], -v[68:69]
	;; [unrolled: 2-line block ×3, first 2 shown]
	v_fma_f64 v[124:125], v[64:65], s[26:27], v[120:121]
	v_fma_f64 v[122:123], v[122:123], -0.5, v[54:55]
	v_add_f64 v[54:55], v[62:63], v[70:71]
	v_add_f64 v[62:63], v[62:63], -v[70:71]
	s_delay_alu instid0(VALU_DEP_2) | instskip(NEXT) | instid1(VALU_DEP_2)
	v_fma_f64 v[46:47], v[54:55], -0.5, v[46:47]
	v_fma_f64 v[54:55], v[62:63], s[26:27], v[122:123]
	v_fma_f64 v[62:63], v[62:63], s[28:29], v[122:123]
	s_delay_alu instid0(VALU_DEP_3) | instskip(NEXT) | instid1(VALU_DEP_3)
	v_fma_f64 v[58:59], v[68:69], s[28:29], v[46:47]
	v_mul_f64 v[56:57], v[54:55], s[28:29]
	v_mul_f64 v[54:55], v[54:55], 0.5
	v_fma_f64 v[46:47], v[68:69], s[26:27], v[46:47]
	s_delay_alu instid0(VALU_DEP_3) | instskip(NEXT) | instid1(VALU_DEP_3)
	v_fma_f64 v[60:61], v[58:59], 0.5, v[56:57]
	v_fma_f64 v[70:71], v[58:59], s[26:27], v[54:55]
	v_fma_f64 v[58:59], v[66:67], s[28:29], v[118:119]
	;; [unrolled: 1-line block ×3, first 2 shown]
	s_delay_alu instid0(VALU_DEP_3) | instskip(NEXT) | instid1(VALU_DEP_3)
	v_add_f64 v[56:57], v[124:125], v[70:71]
	v_add_f64 v[54:55], v[58:59], v[60:61]
	v_add_f64 v[58:59], v[58:59], -v[60:61]
	v_add_f64 v[60:61], v[124:125], -v[70:71]
	v_fma_f64 v[70:71], v[64:65], s[28:29], v[120:121]
	v_mul_f64 v[64:65], v[62:63], s[28:29]
	v_mul_f64 v[62:63], v[62:63], -0.5
	ds_load_b128 v[118:121], v32 offset:5760
	v_fma_f64 v[68:69], v[46:47], -0.5, v[64:65]
	v_fma_f64 v[46:47], v[46:47], s[26:27], v[62:63]
	s_delay_alu instid0(VALU_DEP_2) | instskip(NEXT) | instid1(VALU_DEP_2)
	v_add_f64 v[62:63], v[66:67], v[68:69]
	v_add_f64 v[64:65], v[70:71], v[46:47]
	v_add_f64 v[66:67], v[66:67], -v[68:69]
	v_add_f64 v[68:69], v[70:71], -v[46:47]
	v_add_f64 v[46:47], v[30:31], v[40:41]
	v_add_f64 v[70:71], v[34:35], v[42:43]
	s_waitcnt lgkmcnt(0)
	s_delay_alu instid0(VALU_DEP_2) | instskip(SKIP_1) | instid1(VALU_DEP_3)
	v_fma_f64 v[46:47], v[46:47], -0.5, v[118:119]
	v_add_f64 v[118:119], v[118:119], v[30:31]
	v_fma_f64 v[70:71], v[70:71], -0.5, v[120:121]
	v_add_f64 v[120:121], v[120:121], v[34:35]
	s_delay_alu instid0(VALU_DEP_3) | instskip(SKIP_1) | instid1(VALU_DEP_3)
	v_add_f64 v[122:123], v[118:119], v[40:41]
	v_add_f64 v[118:119], v[28:29], v[38:39]
	;; [unrolled: 1-line block ×3, first 2 shown]
	v_add_f64 v[42:43], v[34:35], -v[42:43]
	v_add_f64 v[40:41], v[30:31], -v[40:41]
	s_delay_alu instid0(VALU_DEP_4) | instskip(SKIP_1) | instid1(VALU_DEP_1)
	v_add_f64 v[126:127], v[118:119], v[52:53]
	v_add_f64 v[118:119], v[76:77], v[36:37]
	;; [unrolled: 1-line block ×3, first 2 shown]
	s_delay_alu instid0(VALU_DEP_3)
	v_add_f64 v[118:119], v[122:123], v[126:127]
	v_add_f64 v[122:123], v[122:123], -v[126:127]
	v_add_f64 v[126:127], v[36:37], v[48:49]
	v_add_f64 v[48:49], v[36:37], -v[48:49]
	;; [unrolled: 2-line block ×3, first 2 shown]
	v_fma_f64 v[128:129], v[40:41], s[26:27], v[70:71]
	v_fma_f64 v[76:77], v[126:127], -0.5, v[76:77]
	v_add_f64 v[126:127], v[38:39], v[52:53]
	v_add_f64 v[38:39], v[38:39], -v[52:53]
	v_fma_f64 v[70:71], v[40:41], s[28:29], v[70:71]
	s_delay_alu instid0(VALU_DEP_3) | instskip(NEXT) | instid1(VALU_DEP_3)
	v_fma_f64 v[52:53], v[126:127], -0.5, v[28:29]
	v_fma_f64 v[28:29], v[38:39], s[26:27], v[76:77]
	v_fma_f64 v[37:38], v[38:39], s[28:29], v[76:77]
	s_delay_alu instid0(VALU_DEP_3) | instskip(NEXT) | instid1(VALU_DEP_3)
	v_fma_f64 v[33:34], v[48:49], s[28:29], v[52:53]
	v_mul_f64 v[30:31], v[28:29], s[28:29]
	v_mul_f64 v[28:29], v[28:29], 0.5
	v_fma_f64 v[39:40], v[48:49], s[26:27], v[52:53]
	v_add_f64 v[52:53], v[22:23], v[50:51]
	s_delay_alu instid0(VALU_DEP_4) | instskip(NEXT) | instid1(VALU_DEP_4)
	v_fma_f64 v[35:36], v[33:34], 0.5, v[30:31]
	v_fma_f64 v[126:127], v[33:34], s[26:27], v[28:29]
	v_fma_f64 v[33:34], v[42:43], s[28:29], v[46:47]
	;; [unrolled: 1-line block ×3, first 2 shown]
	v_mul_f64 v[46:47], v[37:38], s[28:29]
	v_mul_f64 v[37:38], v[37:38], -0.5
	v_add_f64 v[30:31], v[128:129], v[126:127]
	v_add_f64 v[28:29], v[33:34], v[35:36]
	v_add_f64 v[33:34], v[33:34], -v[35:36]
	v_fma_f64 v[46:47], v[39:40], -0.5, v[46:47]
	v_fma_f64 v[48:49], v[39:40], s[26:27], v[37:38]
	v_add_f64 v[35:36], v[128:129], -v[126:127]
	ds_load_b128 v[126:129], v32 offset:7680
	s_waitcnt lgkmcnt(0)
	v_add_f64 v[76:77], v[128:129], v[22:23]
	v_fma_f64 v[52:53], v[52:53], -0.5, v[128:129]
	v_add_f64 v[37:38], v[42:43], v[46:47]
	v_add_f64 v[46:47], v[42:43], -v[46:47]
	v_add_f64 v[41:42], v[20:21], v[44:45]
	v_add_f64 v[39:40], v[70:71], v[48:49]
	v_add_f64 v[48:49], v[70:71], -v[48:49]
	v_add_f64 v[70:71], v[126:127], v[20:21]
	v_add_f64 v[76:77], v[76:77], v[50:51]
	v_add_f64 v[50:51], v[22:23], -v[50:51]
	v_fma_f64 v[41:42], v[41:42], -0.5, v[126:127]
	v_add_f64 v[126:127], v[16:17], v[26:27]
	v_add_f64 v[70:71], v[70:71], v[44:45]
	v_add_f64 v[43:44], v[20:21], -v[44:45]
	s_delay_alu instid0(VALU_DEP_3) | instskip(SKIP_1) | instid1(VALU_DEP_1)
	v_add_f64 v[130:131], v[126:127], v[74:75]
	v_add_f64 v[126:127], v[18:19], v[24:25]
	;; [unrolled: 1-line block ×3, first 2 shown]
	s_delay_alu instid0(VALU_DEP_3)
	v_add_f64 v[126:127], v[70:71], v[130:131]
	v_add_f64 v[130:131], v[70:71], -v[130:131]
	v_add_f64 v[70:71], v[24:25], v[72:73]
	v_add_f64 v[24:25], v[24:25], -v[72:73]
	;; [unrolled: 2-line block ×3, first 2 shown]
	v_fma_f64 v[76:77], v[43:44], s[26:27], v[52:53]
	v_fma_f64 v[70:71], v[70:71], -0.5, v[18:19]
	v_add_f64 v[18:19], v[26:27], v[74:75]
	v_add_f64 v[26:27], v[26:27], -v[74:75]
	v_fma_f64 v[43:44], v[43:44], s[28:29], v[52:53]
	s_delay_alu instid0(VALU_DEP_3) | instskip(NEXT) | instid1(VALU_DEP_3)
	v_fma_f64 v[74:75], v[18:19], -0.5, v[16:17]
	v_fma_f64 v[16:17], v[26:27], s[26:27], v[70:71]
	v_fma_f64 v[26:27], v[26:27], s[28:29], v[70:71]
	s_delay_alu instid0(VALU_DEP_3) | instskip(NEXT) | instid1(VALU_DEP_3)
	v_fma_f64 v[20:21], v[24:25], s[28:29], v[74:75]
	v_mul_f64 v[18:19], v[16:17], s[28:29]
	v_mul_f64 v[16:17], v[16:17], 0.5
	v_fma_f64 v[24:25], v[24:25], s[26:27], v[74:75]
	s_delay_alu instid0(VALU_DEP_3) | instskip(NEXT) | instid1(VALU_DEP_3)
	v_fma_f64 v[22:23], v[20:21], 0.5, v[18:19]
	v_fma_f64 v[72:73], v[20:21], s[26:27], v[16:17]
	v_fma_f64 v[20:21], v[50:51], s[28:29], v[41:42]
	;; [unrolled: 1-line block ×3, first 2 shown]
	v_mul_f64 v[50:51], v[26:27], s[28:29]
	v_mul_f64 v[26:27], v[26:27], -0.5
	v_add_f64 v[18:19], v[76:77], v[72:73]
	v_add_f64 v[16:17], v[20:21], v[22:23]
	v_add_f64 v[20:21], v[20:21], -v[22:23]
	v_fma_f64 v[50:51], v[24:25], -0.5, v[50:51]
	v_fma_f64 v[52:53], v[24:25], s[26:27], v[26:27]
	v_add_f64 v[22:23], v[76:77], -v[72:73]
	s_delay_alu instid0(VALU_DEP_3) | instskip(NEXT) | instid1(VALU_DEP_3)
	v_add_f64 v[24:25], v[41:42], v[50:51]
	v_add_f64 v[26:27], v[43:44], v[52:53]
	v_add_f64 v[41:42], v[41:42], -v[50:51]
	v_add_f64 v[43:44], v[43:44], -v[52:53]
	ds_store_b128 v32, v[12:15]
	ds_store_b128 v32, v[78:81] offset:9600
	ds_store_b128 v32, v[86:89] offset:19200
	;; [unrolled: 1-line block ×29, first 2 shown]
	s_waitcnt lgkmcnt(0)
	s_barrier
	buffer_gl0_inv
	s_clause 0x5
	scratch_load_b128 v[6:9], off, off offset:468
	scratch_load_b128 v[10:13], off, off offset:452
	;; [unrolled: 1-line block ×6, first 2 shown]
	ds_load_b128 v[0:3], v32
	s_clause 0xe
	scratch_load_b128 v[33:36], off, off offset:372
	scratch_load_b128 v[63:66], off, off offset:356
	scratch_load_b128 v[39:42], off, off offset:196
	scratch_load_b128 v[83:86], off, off offset:180
	scratch_load_b128 v[43:46], off, off offset:276
	scratch_load_b128 v[75:78], off, off offset:292
	scratch_load_b128 v[47:50], off, off offset:212
	scratch_load_b128 v[51:54], off, off offset:228
	scratch_load_b128 v[55:58], off, off offset:308
	scratch_load_b128 v[59:62], off, off offset:340
	scratch_load_b128 v[67:70], off, off offset:4
	scratch_load_b128 v[87:90], off, off offset:164
	scratch_load_b128 v[71:74], off, off offset:260
	scratch_load_b128 v[79:82], off, off offset:244
	scratch_load_b32 v91, off, off offset:1240
	s_waitcnt vmcnt(20) lgkmcnt(0)
	v_mul_f64 v[4:5], v[8:9], v[2:3]
	s_delay_alu instid0(VALU_DEP_1) | instskip(SKIP_1) | instid1(VALU_DEP_1)
	v_fma_f64 v[4:5], v[6:7], v[0:1], v[4:5]
	v_mul_f64 v[0:1], v[8:9], v[0:1]
	v_fma_f64 v[6:7], v[6:7], v[2:3], -v[0:1]
	ds_load_b128 v[0:3], v32 offset:5760
	s_waitcnt vmcnt(19) lgkmcnt(0)
	v_mul_f64 v[8:9], v[12:13], v[2:3]
	s_delay_alu instid0(VALU_DEP_1) | instskip(SKIP_1) | instid1(VALU_DEP_1)
	v_fma_f64 v[8:9], v[10:11], v[0:1], v[8:9]
	v_mul_f64 v[0:1], v[12:13], v[0:1]
	v_fma_f64 v[10:11], v[10:11], v[2:3], -v[0:1]
	ds_load_b128 v[0:3], v32 offset:11520
	s_waitcnt vmcnt(18) lgkmcnt(0)
	v_mul_f64 v[12:13], v[16:17], v[2:3]
	s_delay_alu instid0(VALU_DEP_1) | instskip(SKIP_1) | instid1(VALU_DEP_1)
	v_fma_f64 v[12:13], v[14:15], v[0:1], v[12:13]
	v_mul_f64 v[0:1], v[16:17], v[0:1]
	v_fma_f64 v[14:15], v[14:15], v[2:3], -v[0:1]
	ds_load_b128 v[0:3], v32 offset:17280
	s_waitcnt vmcnt(16) lgkmcnt(0)
	v_mul_f64 v[16:17], v[20:21], v[2:3]
	s_delay_alu instid0(VALU_DEP_1) | instskip(SKIP_1) | instid1(VALU_DEP_1)
	v_fma_f64 v[16:17], v[18:19], v[0:1], v[16:17]
	v_mul_f64 v[0:1], v[20:21], v[0:1]
	v_fma_f64 v[18:19], v[18:19], v[2:3], -v[0:1]
	ds_load_b128 v[0:3], v32 offset:23040
	s_waitcnt vmcnt(15) lgkmcnt(0)
	v_mul_f64 v[20:21], v[24:25], v[2:3]
	s_delay_alu instid0(VALU_DEP_1) | instskip(SKIP_1) | instid1(VALU_DEP_1)
	v_fma_f64 v[20:21], v[22:23], v[0:1], v[20:21]
	v_mul_f64 v[0:1], v[24:25], v[0:1]
	v_fma_f64 v[22:23], v[22:23], v[2:3], -v[0:1]
	ds_load_b128 v[0:3], v32 offset:28800
	s_waitcnt lgkmcnt(0)
	v_mul_f64 v[24:25], v[28:29], v[2:3]
	s_delay_alu instid0(VALU_DEP_1) | instskip(SKIP_1) | instid1(VALU_DEP_1)
	v_fma_f64 v[24:25], v[26:27], v[0:1], v[24:25]
	v_mul_f64 v[0:1], v[28:29], v[0:1]
	v_fma_f64 v[26:27], v[26:27], v[2:3], -v[0:1]
	ds_load_b128 v[0:3], v32 offset:34560
	s_waitcnt vmcnt(14) lgkmcnt(0)
	v_mul_f64 v[28:29], v[35:36], v[2:3]
	s_delay_alu instid0(VALU_DEP_1)
	v_fma_f64 v[28:29], v[33:34], v[0:1], v[28:29]
	v_mul_f64 v[0:1], v[35:36], v[0:1]
	scratch_load_b128 v[35:38], off, off offset:324 ; 16-byte Folded Reload
	v_fma_f64 v[30:31], v[33:34], v[2:3], -v[0:1]
	ds_load_b128 v[0:3], v32 offset:40320
	s_waitcnt vmcnt(0) lgkmcnt(0)
	v_mul_f64 v[33:34], v[37:38], v[2:3]
	s_delay_alu instid0(VALU_DEP_1) | instskip(SKIP_1) | instid1(VALU_DEP_1)
	v_fma_f64 v[33:34], v[35:36], v[0:1], v[33:34]
	v_mul_f64 v[0:1], v[37:38], v[0:1]
	v_fma_f64 v[35:36], v[35:36], v[2:3], -v[0:1]
	ds_load_b128 v[0:3], v32 offset:46080
	s_waitcnt lgkmcnt(0)
	v_mul_f64 v[37:38], v[41:42], v[2:3]
	s_delay_alu instid0(VALU_DEP_1) | instskip(SKIP_1) | instid1(VALU_DEP_1)
	v_fma_f64 v[37:38], v[39:40], v[0:1], v[37:38]
	v_mul_f64 v[0:1], v[41:42], v[0:1]
	v_fma_f64 v[39:40], v[39:40], v[2:3], -v[0:1]
	ds_load_b128 v[0:3], v32 offset:51840
	s_waitcnt lgkmcnt(0)
	;; [unrolled: 7-line block ×13, first 2 shown]
	v_mul_f64 v[85:86], v[89:90], v[2:3]
	s_delay_alu instid0(VALU_DEP_1) | instskip(SKIP_1) | instid1(VALU_DEP_1)
	v_fma_f64 v[85:86], v[87:88], v[0:1], v[85:86]
	v_mul_f64 v[0:1], v[89:90], v[0:1]
	v_fma_f64 v[87:88], v[87:88], v[2:3], -v[0:1]
	scratch_load_b64 v[0:1], off, off offset:1308 ; 8-byte Folded Reload
	s_waitcnt vmcnt(0)
	v_mov_b32_e32 v3, v0
	s_delay_alu instid0(VALU_DEP_1) | instskip(SKIP_1) | instid1(SALU_CYCLE_1)
	v_mad_u64_u32 v[89:90], null, s6, v3, 0
	s_mul_i32 s6, s5, 0xffff3d00
	s_sub_i32 s6, s6, s4
	s_delay_alu instid0(VALU_DEP_1) | instskip(NEXT) | instid1(VALU_DEP_1)
	v_mov_b32_e32 v0, v90
	v_mad_u64_u32 v[1:2], null, s7, v3, v[0:1]
	v_mul_f64 v[2:3], v[6:7], s[2:3]
	s_delay_alu instid0(VALU_DEP_2) | instskip(SKIP_2) | instid1(VALU_DEP_1)
	v_mov_b32_e32 v90, v1
	v_mul_f64 v[0:1], v[4:5], s[2:3]
	v_mad_u64_u32 v[4:5], null, s4, v91, 0
	v_mad_u64_u32 v[6:7], null, s5, v91, v[5:6]
	s_delay_alu instid0(VALU_DEP_1) | instskip(SKIP_1) | instid1(VALU_DEP_2)
	v_mov_b32_e32 v5, v6
	v_lshlrev_b64 v[6:7], 4, v[89:90]
	v_lshlrev_b64 v[4:5], 4, v[4:5]
	s_delay_alu instid0(VALU_DEP_2) | instskip(NEXT) | instid1(VALU_DEP_3)
	v_add_co_u32 v93, vcc_lo, s0, v6
	v_add_co_ci_u32_e32 v94, vcc_lo, s1, v7, vcc_lo
	s_mul_i32 s0, s5, 0x1680
	s_delay_alu instid0(VALU_DEP_2) | instskip(NEXT) | instid1(VALU_DEP_2)
	v_add_co_u32 v4, vcc_lo, v93, v4
	v_add_co_ci_u32_e32 v5, vcc_lo, v94, v5, vcc_lo
	s_mul_hi_u32 s1, s4, 0x1680
	v_mul_f64 v[6:7], v[30:31], s[2:3]
	s_add_i32 s1, s1, s0
	s_mul_i32 s0, s4, 0x1680
	global_store_b128 v[4:5], v[0:3], off
	v_mul_f64 v[0:1], v[8:9], s[2:3]
	v_mul_f64 v[2:3], v[10:11], s[2:3]
	v_add_co_u32 v4, vcc_lo, v4, s0
	v_add_co_ci_u32_e32 v5, vcc_lo, s1, v5, vcc_lo
	v_mul_f64 v[8:9], v[33:34], s[2:3]
	v_mul_f64 v[10:11], v[35:36], s[2:3]
	;; [unrolled: 1-line block ×3, first 2 shown]
	global_store_b128 v[4:5], v[0:3], off
	v_mul_f64 v[0:1], v[12:13], s[2:3]
	v_mul_f64 v[2:3], v[14:15], s[2:3]
	v_add_co_u32 v4, vcc_lo, v4, s0
	v_add_co_ci_u32_e32 v5, vcc_lo, s1, v5, vcc_lo
	v_mul_f64 v[12:13], v[37:38], s[2:3]
	v_mul_f64 v[14:15], v[39:40], s[2:3]
	global_store_b128 v[4:5], v[0:3], off
	v_mul_f64 v[0:1], v[16:17], s[2:3]
	v_mul_f64 v[2:3], v[18:19], s[2:3]
	v_add_co_u32 v4, vcc_lo, v4, s0
	v_add_co_ci_u32_e32 v5, vcc_lo, s1, v5, vcc_lo
	v_mul_f64 v[18:19], v[43:44], s[2:3]
	s_delay_alu instid0(VALU_DEP_3) | instskip(NEXT) | instid1(VALU_DEP_3)
	v_add_co_u32 v16, vcc_lo, v4, s0
	v_add_co_ci_u32_e32 v17, vcc_lo, s1, v5, vcc_lo
	global_store_b128 v[4:5], v[0:3], off
	v_mul_f64 v[0:1], v[20:21], s[2:3]
	v_mul_f64 v[2:3], v[22:23], s[2:3]
	;; [unrolled: 1-line block ×5, first 2 shown]
	scratch_load_b128 v[45:48], off, off offset:68 ; 16-byte Folded Reload
	global_store_b128 v[16:17], v[0:3], off
	v_mul_f64 v[0:1], v[24:25], s[2:3]
	v_mul_f64 v[2:3], v[26:27], s[2:3]
	v_add_co_u32 v16, vcc_lo, v16, s0
	v_add_co_ci_u32_e32 v17, vcc_lo, s1, v17, vcc_lo
	v_mul_f64 v[26:27], v[51:52], s[2:3]
	s_delay_alu instid0(VALU_DEP_3) | instskip(NEXT) | instid1(VALU_DEP_3)
	v_add_co_u32 v24, vcc_lo, v16, s0
	v_add_co_ci_u32_e32 v25, vcc_lo, s1, v17, vcc_lo
	s_delay_alu instid0(VALU_DEP_2) | instskip(NEXT) | instid1(VALU_DEP_2)
	v_add_co_u32 v28, vcc_lo, v24, s0
	v_add_co_ci_u32_e32 v29, vcc_lo, s1, v25, vcc_lo
	s_delay_alu instid0(VALU_DEP_2) | instskip(NEXT) | instid1(VALU_DEP_2)
	;; [unrolled: 3-line block ×3, first 2 shown]
	v_add_co_u32 v37, vcc_lo, v33, s0
	v_add_co_ci_u32_e32 v38, vcc_lo, s1, v34, vcc_lo
	s_delay_alu instid0(VALU_DEP_1) | instskip(NEXT) | instid1(VALU_DEP_1)
	v_mad_u64_u32 v[39:40], null, 0xffff3d00, s4, v[37:38]
	v_add_nc_u32_e32 v40, s6, v40
	global_store_b128 v[16:17], v[0:3], off
	v_mul_f64 v[16:17], v[41:42], s[2:3]
	global_store_b128 v[24:25], v[4:7], off
	global_store_b128 v[28:29], v[8:11], off
	global_store_b128 v[33:34], v[12:15], off
	v_mul_f64 v[24:25], v[49:50], s[2:3]
	v_mul_f64 v[10:11], v[55:56], s[2:3]
	v_mul_f64 v[8:9], v[53:54], s[2:3]
	ds_load_b128 v[0:3], v32 offset:15360
	v_mul_f64 v[12:13], v[57:58], s[2:3]
	ds_load_b128 v[4:7], v32 offset:9600
	ds_load_b128 v[28:31], v32 offset:21120
	v_mul_f64 v[14:15], v[59:60], s[2:3]
	v_mul_f64 v[33:34], v[61:62], s[2:3]
	global_store_b128 v[37:38], v[16:19], off
	global_store_b128 v[39:40], v[20:23], off
	scratch_load_b128 v[20:23], off, off offset:100 ; 16-byte Folded Reload
	ds_load_b128 v[16:19], v32 offset:26880
	s_waitcnt vmcnt(1)
	v_dual_mov_b32 v58, v46 :: v_dual_mov_b32 v57, v45
	s_waitcnt lgkmcnt(2)
	v_mul_f64 v[41:42], v[47:48], v[6:7]
	v_mul_f64 v[43:44], v[47:48], v[4:5]
	s_delay_alu instid0(VALU_DEP_2) | instskip(NEXT) | instid1(VALU_DEP_2)
	v_fma_f64 v[41:42], v[57:58], v[4:5], v[41:42]
	v_fma_f64 v[43:44], v[57:58], v[6:7], -v[43:44]
	s_waitcnt vmcnt(0)
	v_dual_mov_b32 v56, v21 :: v_dual_mov_b32 v55, v20
	v_add_co_u32 v20, vcc_lo, v39, s0
	v_add_co_ci_u32_e32 v21, vcc_lo, s1, v40, vcc_lo
	v_mul_f64 v[37:38], v[22:23], v[2:3]
	v_mul_f64 v[45:46], v[22:23], v[0:1]
	s_delay_alu instid0(VALU_DEP_4)
	v_add_co_u32 v22, vcc_lo, v20, s0
	global_store_b128 v[20:21], v[24:27], off
	scratch_load_b128 v[24:27], off, off offset:84 ; 16-byte Folded Reload
	v_add_co_ci_u32_e32 v23, vcc_lo, s1, v21, vcc_lo
	v_add_co_u32 v20, vcc_lo, v22, s0
	global_store_b128 v[22:23], v[8:11], off
	scratch_load_b128 v[8:11], off, off offset:116 ; 16-byte Folded Reload
	v_add_co_ci_u32_e32 v21, vcc_lo, s1, v23, vcc_lo
	v_add_co_u32 v22, vcc_lo, v20, s0
	s_delay_alu instid0(VALU_DEP_2)
	v_add_co_ci_u32_e32 v23, vcc_lo, s1, v21, vcc_lo
	global_store_b128 v[20:21], v[12:15], off
	v_mad_u64_u32 v[53:54], null, 0x2d00, s4, v[22:23]
	v_fma_f64 v[45:46], v[55:56], v[2:3], -v[45:46]
	s_waitcnt vmcnt(1) lgkmcnt(1)
	v_mul_f64 v[39:40], v[26:27], v[30:31]
	v_mul_f64 v[47:48], v[26:27], v[28:29]
	v_dual_mov_b32 v64, v25 :: v_dual_mov_b32 v63, v24
	v_mov_b32_e32 v26, v54
	v_mul_f64 v[24:25], v[65:66], s[2:3]
	s_waitcnt vmcnt(0)
	v_mov_b32_e32 v90, v9
	s_waitcnt lgkmcnt(0)
	v_mul_f64 v[49:50], v[10:11], v[18:19]
	v_mul_f64 v[51:52], v[10:11], v[16:17]
	v_mov_b32_e32 v89, v8
	ds_load_b128 v[8:11], v32 offset:32640
	ds_load_b128 v[4:7], v32 offset:38400
	;; [unrolled: 1-line block ×3, first 2 shown]
	global_store_b128 v[22:23], v[33:36], off
	v_fma_f64 v[36:37], v[55:56], v[0:1], v[37:38]
	v_mad_u64_u32 v[54:55], null, 0x2d00, s5, v[26:27]
	v_mul_f64 v[26:27], v[67:68], s[2:3]
	s_clause 0x2
	scratch_load_b128 v[65:68], off, off offset:36
	scratch_load_b128 v[59:62], off, off offset:20
	scratch_load_b32 v95, off, off
	ds_load_b128 v[20:23], v32 offset:44160
	ds_load_b128 v[0:3], v32 offset:55680
	v_mul_f64 v[32:33], v[69:70], s[2:3]
	v_mul_f64 v[34:35], v[71:72], s[2:3]
	v_fma_f64 v[38:39], v[63:64], v[28:29], v[39:40]
	v_fma_f64 v[47:48], v[63:64], v[30:31], -v[47:48]
	scratch_load_b128 v[28:31], off, off offset:52 ; 16-byte Folded Reload
	v_fma_f64 v[49:50], v[89:90], v[16:17], v[49:50]
	v_fma_f64 v[51:52], v[89:90], v[18:19], -v[51:52]
	scratch_load_b128 v[16:19], off, off offset:148 ; 16-byte Folded Reload
	s_waitcnt vmcnt(4)
	v_mov_b32_e32 v99, v66
	s_waitcnt vmcnt(3) lgkmcnt(4)
	v_mul_f64 v[55:56], v[61:62], v[10:11]
	v_mul_f64 v[57:58], v[61:62], v[8:9]
	s_waitcnt lgkmcnt(3)
	v_mul_f64 v[61:62], v[67:68], v[6:7]
	v_mul_f64 v[63:64], v[67:68], v[4:5]
	v_dual_mov_b32 v98, v65 :: v_dual_mov_b32 v97, v60
	v_mov_b32_e32 v96, v59
	s_waitcnt vmcnt(2)
	v_mad_u64_u32 v[59:60], null, s4, v95, 0
	s_waitcnt vmcnt(1)
	s_delay_alu instid0(VALU_DEP_1)
	v_dual_mov_b32 v40, v60 :: v_dual_mov_b32 v101, v29
	s_waitcnt lgkmcnt(1)
	v_mul_f64 v[65:66], v[30:31], v[22:23]
	v_mul_f64 v[67:68], v[30:31], v[20:21]
	v_mov_b32_e32 v100, v28
	scratch_load_b128 v[28:31], off, off offset:132 ; 16-byte Folded Reload
	s_waitcnt vmcnt(1) lgkmcnt(0)
	v_mul_f64 v[89:90], v[18:19], v[2:3]
	v_mul_f64 v[91:92], v[18:19], v[0:1]
	v_dual_mov_b32 v105, v17 :: v_dual_mov_b32 v104, v16
	v_mul_f64 v[16:17], v[73:74], s[2:3]
	v_mul_f64 v[18:19], v[75:76], s[2:3]
	v_mad_u64_u32 v[73:74], null, s5, v95, v[40:41]
	v_fma_f64 v[55:56], v[96:97], v[8:9], v[55:56]
	v_fma_f64 v[57:58], v[96:97], v[10:11], -v[57:58]
	v_fma_f64 v[61:62], v[98:99], v[4:5], v[61:62]
	v_fma_f64 v[63:64], v[98:99], v[6:7], -v[63:64]
	v_mul_f64 v[6:7], v[87:88], s[2:3]
	v_mov_b32_e32 v60, v73
	v_add_co_u32 v73, vcc_lo, v53, s0
	v_add_co_ci_u32_e32 v74, vcc_lo, s1, v54, vcc_lo
	s_delay_alu instid0(VALU_DEP_3) | instskip(NEXT) | instid1(VALU_DEP_3)
	v_lshlrev_b64 v[10:11], 4, v[59:60]
	v_add_co_u32 v8, vcc_lo, v73, s0
	s_delay_alu instid0(VALU_DEP_3) | instskip(NEXT) | instid1(VALU_DEP_2)
	v_add_co_ci_u32_e32 v9, vcc_lo, s1, v74, vcc_lo
	v_add_co_u32 v59, vcc_lo, v8, s0
	s_delay_alu instid0(VALU_DEP_2)
	v_add_co_ci_u32_e32 v60, vcc_lo, s1, v9, vcc_lo
	v_add_co_u32 v4, vcc_lo, v93, v10
	v_fma_f64 v[65:66], v[100:101], v[20:21], v[65:66]
	v_fma_f64 v[67:68], v[100:101], v[22:23], -v[67:68]
	v_add_co_ci_u32_e32 v5, vcc_lo, v94, v11, vcc_lo
	global_store_b128 v[4:5], v[24:27], off
	global_store_b128 v[53:54], v[32:35], off
	;; [unrolled: 1-line block ×3, first 2 shown]
	v_fma_f64 v[75:76], v[104:105], v[0:1], v[89:90]
	v_mul_f64 v[0:1], v[81:82], s[2:3]
	v_mul_f64 v[4:5], v[85:86], s[2:3]
	;; [unrolled: 1-line block ×11, first 2 shown]
	s_waitcnt vmcnt(0)
	v_mul_f64 v[69:70], v[30:31], v[14:15]
	v_mul_f64 v[71:72], v[30:31], v[12:13]
	v_dual_mov_b32 v103, v29 :: v_dual_mov_b32 v102, v28
	v_mul_f64 v[28:29], v[77:78], s[2:3]
	v_mul_f64 v[30:31], v[79:80], s[2:3]
	v_fma_f64 v[77:78], v[104:105], v[2:3], -v[91:92]
	v_mul_f64 v[2:3], v[83:84], s[2:3]
	v_mad_u64_u32 v[79:80], null, 0xffff3d00, s4, v[59:60]
	s_delay_alu instid0(VALU_DEP_1) | instskip(NEXT) | instid1(VALU_DEP_2)
	v_add_nc_u32_e32 v80, s6, v80
	v_add_co_u32 v53, vcc_lo, v79, s0
	s_delay_alu instid0(VALU_DEP_2) | instskip(NEXT) | instid1(VALU_DEP_2)
	v_add_co_ci_u32_e32 v54, vcc_lo, s1, v80, vcc_lo
	v_add_co_u32 v44, vcc_lo, v53, s0
	v_fma_f64 v[69:70], v[102:103], v[12:13], v[69:70]
	v_fma_f64 v[71:72], v[102:103], v[14:15], -v[71:72]
	v_mul_f64 v[12:13], v[36:37], s[2:3]
	v_mul_f64 v[14:15], v[45:46], s[2:3]
	v_add_co_ci_u32_e32 v45, vcc_lo, s1, v54, vcc_lo
	global_store_b128 v[8:9], v[28:31], off
	v_mul_f64 v[8:9], v[41:42], s[2:3]
	v_mul_f64 v[28:29], v[61:62], s[2:3]
	;; [unrolled: 1-line block ×5, first 2 shown]
	v_add_co_u32 v46, vcc_lo, v44, s0
	v_add_co_ci_u32_e32 v47, vcc_lo, s1, v45, vcc_lo
	global_store_b128 v[59:60], v[0:3], off
	v_add_co_u32 v0, vcc_lo, v46, s0
	v_add_co_ci_u32_e32 v1, vcc_lo, s1, v47, vcc_lo
	global_store_b128 v[79:80], v[4:7], off
	v_add_co_u32 v2, vcc_lo, v0, s0
	v_add_co_ci_u32_e32 v3, vcc_lo, s1, v1, vcc_lo
	s_delay_alu instid0(VALU_DEP_2) | instskip(NEXT) | instid1(VALU_DEP_2)
	v_add_co_u32 v4, vcc_lo, v2, s0
	v_add_co_ci_u32_e32 v5, vcc_lo, s1, v3, vcc_lo
	s_delay_alu instid0(VALU_DEP_2) | instskip(NEXT) | instid1(VALU_DEP_2)
	v_add_co_u32 v6, vcc_lo, v4, s0
	v_add_co_ci_u32_e32 v7, vcc_lo, s1, v5, vcc_lo
	v_mul_f64 v[36:37], v[69:70], s[2:3]
	v_mul_f64 v[38:39], v[71:72], s[2:3]
	global_store_b128 v[53:54], v[8:11], off
	v_add_co_u32 v8, vcc_lo, v6, s0
	v_add_co_ci_u32_e32 v9, vcc_lo, s1, v7, vcc_lo
	global_store_b128 v[44:45], v[12:15], off
	global_store_b128 v[46:47], v[16:19], off
	;; [unrolled: 1-line block ×3, first 2 shown]
	v_add_co_u32 v0, vcc_lo, v8, s0
	v_add_co_ci_u32_e32 v1, vcc_lo, s1, v9, vcc_lo
	global_store_b128 v[2:3], v[24:27], off
	global_store_b128 v[4:5], v[28:31], off
	;; [unrolled: 1-line block ×5, first 2 shown]
.LBB0_2:
	s_nop 0
	s_sendmsg sendmsg(MSG_DEALLOC_VGPRS)
	s_endpgm
	.section	.rodata,"a",@progbits
	.p2align	6, 0x0
	.amdhsa_kernel bluestein_single_fwd_len3600_dim1_dp_op_CI_CI
		.amdhsa_group_segment_fixed_size 57600
		.amdhsa_private_segment_fixed_size 1424
		.amdhsa_kernarg_size 104
		.amdhsa_user_sgpr_count 15
		.amdhsa_user_sgpr_dispatch_ptr 0
		.amdhsa_user_sgpr_queue_ptr 0
		.amdhsa_user_sgpr_kernarg_segment_ptr 1
		.amdhsa_user_sgpr_dispatch_id 0
		.amdhsa_user_sgpr_private_segment_size 0
		.amdhsa_wavefront_size32 1
		.amdhsa_uses_dynamic_stack 0
		.amdhsa_enable_private_segment 1
		.amdhsa_system_sgpr_workgroup_id_x 1
		.amdhsa_system_sgpr_workgroup_id_y 0
		.amdhsa_system_sgpr_workgroup_id_z 0
		.amdhsa_system_sgpr_workgroup_info 0
		.amdhsa_system_vgpr_workitem_id 0
		.amdhsa_next_free_vgpr 256
		.amdhsa_next_free_sgpr 30
		.amdhsa_reserve_vcc 1
		.amdhsa_float_round_mode_32 0
		.amdhsa_float_round_mode_16_64 0
		.amdhsa_float_denorm_mode_32 3
		.amdhsa_float_denorm_mode_16_64 3
		.amdhsa_dx10_clamp 1
		.amdhsa_ieee_mode 1
		.amdhsa_fp16_overflow 0
		.amdhsa_workgroup_processor_mode 1
		.amdhsa_memory_ordered 1
		.amdhsa_forward_progress 0
		.amdhsa_shared_vgpr_count 0
		.amdhsa_exception_fp_ieee_invalid_op 0
		.amdhsa_exception_fp_denorm_src 0
		.amdhsa_exception_fp_ieee_div_zero 0
		.amdhsa_exception_fp_ieee_overflow 0
		.amdhsa_exception_fp_ieee_underflow 0
		.amdhsa_exception_fp_ieee_inexact 0
		.amdhsa_exception_int_div_zero 0
	.end_amdhsa_kernel
	.text
.Lfunc_end0:
	.size	bluestein_single_fwd_len3600_dim1_dp_op_CI_CI, .Lfunc_end0-bluestein_single_fwd_len3600_dim1_dp_op_CI_CI
                                        ; -- End function
	.section	.AMDGPU.csdata,"",@progbits
; Kernel info:
; codeLenInByte = 45664
; NumSgprs: 32
; NumVgprs: 256
; ScratchSize: 1424
; MemoryBound: 0
; FloatMode: 240
; IeeeMode: 1
; LDSByteSize: 57600 bytes/workgroup (compile time only)
; SGPRBlocks: 3
; VGPRBlocks: 31
; NumSGPRsForWavesPerEU: 32
; NumVGPRsForWavesPerEU: 256
; Occupancy: 2
; WaveLimiterHint : 1
; COMPUTE_PGM_RSRC2:SCRATCH_EN: 1
; COMPUTE_PGM_RSRC2:USER_SGPR: 15
; COMPUTE_PGM_RSRC2:TRAP_HANDLER: 0
; COMPUTE_PGM_RSRC2:TGID_X_EN: 1
; COMPUTE_PGM_RSRC2:TGID_Y_EN: 0
; COMPUTE_PGM_RSRC2:TGID_Z_EN: 0
; COMPUTE_PGM_RSRC2:TIDIG_COMP_CNT: 0
	.text
	.p2alignl 7, 3214868480
	.fill 96, 4, 3214868480
	.type	__hip_cuid_7f0a5dc25b716636,@object ; @__hip_cuid_7f0a5dc25b716636
	.section	.bss,"aw",@nobits
	.globl	__hip_cuid_7f0a5dc25b716636
__hip_cuid_7f0a5dc25b716636:
	.byte	0                               ; 0x0
	.size	__hip_cuid_7f0a5dc25b716636, 1

	.ident	"AMD clang version 19.0.0git (https://github.com/RadeonOpenCompute/llvm-project roc-6.4.0 25133 c7fe45cf4b819c5991fe208aaa96edf142730f1d)"
	.section	".note.GNU-stack","",@progbits
	.addrsig
	.addrsig_sym __hip_cuid_7f0a5dc25b716636
	.amdgpu_metadata
---
amdhsa.kernels:
  - .args:
      - .actual_access:  read_only
        .address_space:  global
        .offset:         0
        .size:           8
        .value_kind:     global_buffer
      - .actual_access:  read_only
        .address_space:  global
        .offset:         8
        .size:           8
        .value_kind:     global_buffer
      - .actual_access:  read_only
        .address_space:  global
        .offset:         16
        .size:           8
        .value_kind:     global_buffer
      - .actual_access:  read_only
        .address_space:  global
        .offset:         24
        .size:           8
        .value_kind:     global_buffer
      - .actual_access:  read_only
        .address_space:  global
        .offset:         32
        .size:           8
        .value_kind:     global_buffer
      - .offset:         40
        .size:           8
        .value_kind:     by_value
      - .address_space:  global
        .offset:         48
        .size:           8
        .value_kind:     global_buffer
      - .address_space:  global
        .offset:         56
        .size:           8
        .value_kind:     global_buffer
      - .address_space:  global
        .offset:         64
        .size:           8
        .value_kind:     global_buffer
      - .address_space:  global
        .offset:         72
        .size:           8
        .value_kind:     global_buffer
      - .offset:         80
        .size:           4
        .value_kind:     by_value
      - .address_space:  global
        .offset:         88
        .size:           8
        .value_kind:     global_buffer
      - .address_space:  global
        .offset:         96
        .size:           8
        .value_kind:     global_buffer
    .group_segment_fixed_size: 57600
    .kernarg_segment_align: 8
    .kernarg_segment_size: 104
    .language:       OpenCL C
    .language_version:
      - 2
      - 0
    .max_flat_workgroup_size: 120
    .name:           bluestein_single_fwd_len3600_dim1_dp_op_CI_CI
    .private_segment_fixed_size: 1424
    .sgpr_count:     32
    .sgpr_spill_count: 0
    .symbol:         bluestein_single_fwd_len3600_dim1_dp_op_CI_CI.kd
    .uniform_work_group_size: 1
    .uses_dynamic_stack: false
    .vgpr_count:     256
    .vgpr_spill_count: 357
    .wavefront_size: 32
    .workgroup_processor_mode: 1
amdhsa.target:   amdgcn-amd-amdhsa--gfx1100
amdhsa.version:
  - 1
  - 2
...

	.end_amdgpu_metadata
